;; amdgpu-corpus repo=ROCm/composable_kernel kind=compiled arch=gfx90a opt=O3
	.text
	.amdgcn_target "amdgcn-amd-amdhsa--gfx90a"
	.amdhsa_code_object_version 6
	.section	.text._ZN2ckL12flush_icacheEv,"axG",@progbits,_ZN2ckL12flush_icacheEv,comdat
	.globl	_ZN2ckL12flush_icacheEv         ; -- Begin function _ZN2ckL12flush_icacheEv
	.p2align	8
	.type	_ZN2ckL12flush_icacheEv,@function
_ZN2ckL12flush_icacheEv:                ; @_ZN2ckL12flush_icacheEv
; %bb.0:
	;;#ASMSTART
	s_icache_inv 
	s_nop 0 
	s_nop 0 
	;; [unrolled: 1-line block ×16, first 2 shown]
	
	;;#ASMEND
	s_endpgm
	.section	.rodata,"a",@progbits
	.p2align	6, 0x0
	.amdhsa_kernel _ZN2ckL12flush_icacheEv
		.amdhsa_group_segment_fixed_size 0
		.amdhsa_private_segment_fixed_size 0
		.amdhsa_kernarg_size 0
		.amdhsa_user_sgpr_count 4
		.amdhsa_user_sgpr_private_segment_buffer 1
		.amdhsa_user_sgpr_dispatch_ptr 0
		.amdhsa_user_sgpr_queue_ptr 0
		.amdhsa_user_sgpr_kernarg_segment_ptr 0
		.amdhsa_user_sgpr_dispatch_id 0
		.amdhsa_user_sgpr_flat_scratch_init 0
		.amdhsa_user_sgpr_kernarg_preload_length 0
		.amdhsa_user_sgpr_kernarg_preload_offset 0
		.amdhsa_user_sgpr_private_segment_size 0
		.amdhsa_uses_dynamic_stack 0
		.amdhsa_system_sgpr_private_segment_wavefront_offset 0
		.amdhsa_system_sgpr_workgroup_id_x 1
		.amdhsa_system_sgpr_workgroup_id_y 0
		.amdhsa_system_sgpr_workgroup_id_z 0
		.amdhsa_system_sgpr_workgroup_info 0
		.amdhsa_system_vgpr_workitem_id 0
		.amdhsa_next_free_vgpr 1
		.amdhsa_next_free_sgpr 0
		.amdhsa_accum_offset 4
		.amdhsa_reserve_vcc 0
		.amdhsa_reserve_flat_scratch 0
		.amdhsa_float_round_mode_32 0
		.amdhsa_float_round_mode_16_64 0
		.amdhsa_float_denorm_mode_32 3
		.amdhsa_float_denorm_mode_16_64 3
		.amdhsa_dx10_clamp 1
		.amdhsa_ieee_mode 1
		.amdhsa_fp16_overflow 0
		.amdhsa_tg_split 0
		.amdhsa_exception_fp_ieee_invalid_op 0
		.amdhsa_exception_fp_denorm_src 0
		.amdhsa_exception_fp_ieee_div_zero 0
		.amdhsa_exception_fp_ieee_overflow 0
		.amdhsa_exception_fp_ieee_underflow 0
		.amdhsa_exception_fp_ieee_inexact 0
		.amdhsa_exception_int_div_zero 0
	.end_amdhsa_kernel
	.section	.text._ZN2ckL12flush_icacheEv,"axG",@progbits,_ZN2ckL12flush_icacheEv,comdat
.Lfunc_end0:
	.size	_ZN2ckL12flush_icacheEv, .Lfunc_end0-_ZN2ckL12flush_icacheEv
                                        ; -- End function
	.section	.AMDGPU.csdata,"",@progbits
; Kernel info:
; codeLenInByte = 140
; NumSgprs: 4
; NumVgprs: 0
; NumAgprs: 0
; TotalNumVgprs: 0
; ScratchSize: 0
; MemoryBound: 0
; FloatMode: 240
; IeeeMode: 1
; LDSByteSize: 0 bytes/workgroup (compile time only)
; SGPRBlocks: 0
; VGPRBlocks: 0
; NumSGPRsForWavesPerEU: 4
; NumVGPRsForWavesPerEU: 1
; AccumOffset: 4
; Occupancy: 8
; WaveLimiterHint : 0
; COMPUTE_PGM_RSRC2:SCRATCH_EN: 0
; COMPUTE_PGM_RSRC2:USER_SGPR: 4
; COMPUTE_PGM_RSRC2:TRAP_HANDLER: 0
; COMPUTE_PGM_RSRC2:TGID_X_EN: 1
; COMPUTE_PGM_RSRC2:TGID_Y_EN: 0
; COMPUTE_PGM_RSRC2:TGID_Z_EN: 0
; COMPUTE_PGM_RSRC2:TIDIG_COMP_CNT: 0
; COMPUTE_PGM_RSRC3_GFX90A:ACCUM_OFFSET: 0
; COMPUTE_PGM_RSRC3_GFX90A:TG_SPLIT: 0
	.section	.text._ZN2ck27kernel_gemm_xdl_cshuffle_v3INS_28GridwiseGemm_xdl_cshuffle_v3INS_13tensor_layout4gemm8RowMajorENS3_11ColumnMajorES4_DF16_NS_7pk_i4_tEfDF16_DF16_NS_16tensor_operation12element_wise11PassThroughES9_S9_LNS7_6device18GemmSpecializationE0ELi256ELi1ELi128ELi128ELi128ELi64ELi8ELi16ELi16ELi16ELi8ELi2ENS_8SequenceIJLi8ELi32ELi1EEEENSC_IJLi1ELi0ELi2EEEESE_Li2ELi8ELi8ELb0ELi0ENSC_IJLi2ELi128ELi1EEEESE_SE_Li2ELi16ELi16ELb0ELi0ELi1ELi1ENSC_IJLi1ELi16ELi1ELi16EEEELi4ELNS_26BlockGemmPipelineSchedulerE0ELNS_24BlockGemmPipelineVersionE2EDF16_DF16_Lb0ELb1EEELb1ELNS_25InMemoryDataOperationEnumE1ELi2ELNS_10TailNumberE10EEEvNT_8ArgumentE,"axG",@progbits,_ZN2ck27kernel_gemm_xdl_cshuffle_v3INS_28GridwiseGemm_xdl_cshuffle_v3INS_13tensor_layout4gemm8RowMajorENS3_11ColumnMajorES4_DF16_NS_7pk_i4_tEfDF16_DF16_NS_16tensor_operation12element_wise11PassThroughES9_S9_LNS7_6device18GemmSpecializationE0ELi256ELi1ELi128ELi128ELi128ELi64ELi8ELi16ELi16ELi16ELi8ELi2ENS_8SequenceIJLi8ELi32ELi1EEEENSC_IJLi1ELi0ELi2EEEESE_Li2ELi8ELi8ELb0ELi0ENSC_IJLi2ELi128ELi1EEEESE_SE_Li2ELi16ELi16ELb0ELi0ELi1ELi1ENSC_IJLi1ELi16ELi1ELi16EEEELi4ELNS_26BlockGemmPipelineSchedulerE0ELNS_24BlockGemmPipelineVersionE2EDF16_DF16_Lb0ELb1EEELb1ELNS_25InMemoryDataOperationEnumE1ELi2ELNS_10TailNumberE10EEEvNT_8ArgumentE,comdat
	.protected	_ZN2ck27kernel_gemm_xdl_cshuffle_v3INS_28GridwiseGemm_xdl_cshuffle_v3INS_13tensor_layout4gemm8RowMajorENS3_11ColumnMajorES4_DF16_NS_7pk_i4_tEfDF16_DF16_NS_16tensor_operation12element_wise11PassThroughES9_S9_LNS7_6device18GemmSpecializationE0ELi256ELi1ELi128ELi128ELi128ELi64ELi8ELi16ELi16ELi16ELi8ELi2ENS_8SequenceIJLi8ELi32ELi1EEEENSC_IJLi1ELi0ELi2EEEESE_Li2ELi8ELi8ELb0ELi0ENSC_IJLi2ELi128ELi1EEEESE_SE_Li2ELi16ELi16ELb0ELi0ELi1ELi1ENSC_IJLi1ELi16ELi1ELi16EEEELi4ELNS_26BlockGemmPipelineSchedulerE0ELNS_24BlockGemmPipelineVersionE2EDF16_DF16_Lb0ELb1EEELb1ELNS_25InMemoryDataOperationEnumE1ELi2ELNS_10TailNumberE10EEEvNT_8ArgumentE ; -- Begin function _ZN2ck27kernel_gemm_xdl_cshuffle_v3INS_28GridwiseGemm_xdl_cshuffle_v3INS_13tensor_layout4gemm8RowMajorENS3_11ColumnMajorES4_DF16_NS_7pk_i4_tEfDF16_DF16_NS_16tensor_operation12element_wise11PassThroughES9_S9_LNS7_6device18GemmSpecializationE0ELi256ELi1ELi128ELi128ELi128ELi64ELi8ELi16ELi16ELi16ELi8ELi2ENS_8SequenceIJLi8ELi32ELi1EEEENSC_IJLi1ELi0ELi2EEEESE_Li2ELi8ELi8ELb0ELi0ENSC_IJLi2ELi128ELi1EEEESE_SE_Li2ELi16ELi16ELb0ELi0ELi1ELi1ENSC_IJLi1ELi16ELi1ELi16EEEELi4ELNS_26BlockGemmPipelineSchedulerE0ELNS_24BlockGemmPipelineVersionE2EDF16_DF16_Lb0ELb1EEELb1ELNS_25InMemoryDataOperationEnumE1ELi2ELNS_10TailNumberE10EEEvNT_8ArgumentE
	.globl	_ZN2ck27kernel_gemm_xdl_cshuffle_v3INS_28GridwiseGemm_xdl_cshuffle_v3INS_13tensor_layout4gemm8RowMajorENS3_11ColumnMajorES4_DF16_NS_7pk_i4_tEfDF16_DF16_NS_16tensor_operation12element_wise11PassThroughES9_S9_LNS7_6device18GemmSpecializationE0ELi256ELi1ELi128ELi128ELi128ELi64ELi8ELi16ELi16ELi16ELi8ELi2ENS_8SequenceIJLi8ELi32ELi1EEEENSC_IJLi1ELi0ELi2EEEESE_Li2ELi8ELi8ELb0ELi0ENSC_IJLi2ELi128ELi1EEEESE_SE_Li2ELi16ELi16ELb0ELi0ELi1ELi1ENSC_IJLi1ELi16ELi1ELi16EEEELi4ELNS_26BlockGemmPipelineSchedulerE0ELNS_24BlockGemmPipelineVersionE2EDF16_DF16_Lb0ELb1EEELb1ELNS_25InMemoryDataOperationEnumE1ELi2ELNS_10TailNumberE10EEEvNT_8ArgumentE
	.p2align	8
	.type	_ZN2ck27kernel_gemm_xdl_cshuffle_v3INS_28GridwiseGemm_xdl_cshuffle_v3INS_13tensor_layout4gemm8RowMajorENS3_11ColumnMajorES4_DF16_NS_7pk_i4_tEfDF16_DF16_NS_16tensor_operation12element_wise11PassThroughES9_S9_LNS7_6device18GemmSpecializationE0ELi256ELi1ELi128ELi128ELi128ELi64ELi8ELi16ELi16ELi16ELi8ELi2ENS_8SequenceIJLi8ELi32ELi1EEEENSC_IJLi1ELi0ELi2EEEESE_Li2ELi8ELi8ELb0ELi0ENSC_IJLi2ELi128ELi1EEEESE_SE_Li2ELi16ELi16ELb0ELi0ELi1ELi1ENSC_IJLi1ELi16ELi1ELi16EEEELi4ELNS_26BlockGemmPipelineSchedulerE0ELNS_24BlockGemmPipelineVersionE2EDF16_DF16_Lb0ELb1EEELb1ELNS_25InMemoryDataOperationEnumE1ELi2ELNS_10TailNumberE10EEEvNT_8ArgumentE,@function
_ZN2ck27kernel_gemm_xdl_cshuffle_v3INS_28GridwiseGemm_xdl_cshuffle_v3INS_13tensor_layout4gemm8RowMajorENS3_11ColumnMajorES4_DF16_NS_7pk_i4_tEfDF16_DF16_NS_16tensor_operation12element_wise11PassThroughES9_S9_LNS7_6device18GemmSpecializationE0ELi256ELi1ELi128ELi128ELi128ELi64ELi8ELi16ELi16ELi16ELi8ELi2ENS_8SequenceIJLi8ELi32ELi1EEEENSC_IJLi1ELi0ELi2EEEESE_Li2ELi8ELi8ELb0ELi0ENSC_IJLi2ELi128ELi1EEEESE_SE_Li2ELi16ELi16ELb0ELi0ELi1ELi1ENSC_IJLi1ELi16ELi1ELi16EEEELi4ELNS_26BlockGemmPipelineSchedulerE0ELNS_24BlockGemmPipelineVersionE2EDF16_DF16_Lb0ELb1EEELb1ELNS_25InMemoryDataOperationEnumE1ELi2ELNS_10TailNumberE10EEEvNT_8ArgumentE: ; @_ZN2ck27kernel_gemm_xdl_cshuffle_v3INS_28GridwiseGemm_xdl_cshuffle_v3INS_13tensor_layout4gemm8RowMajorENS3_11ColumnMajorES4_DF16_NS_7pk_i4_tEfDF16_DF16_NS_16tensor_operation12element_wise11PassThroughES9_S9_LNS7_6device18GemmSpecializationE0ELi256ELi1ELi128ELi128ELi128ELi64ELi8ELi16ELi16ELi16ELi8ELi2ENS_8SequenceIJLi8ELi32ELi1EEEENSC_IJLi1ELi0ELi2EEEESE_Li2ELi8ELi8ELb0ELi0ENSC_IJLi2ELi128ELi1EEEESE_SE_Li2ELi16ELi16ELb0ELi0ELi1ELi1ENSC_IJLi1ELi16ELi1ELi16EEEELi4ELNS_26BlockGemmPipelineSchedulerE0ELNS_24BlockGemmPipelineVersionE2EDF16_DF16_Lb0ELb1EEELb1ELNS_25InMemoryDataOperationEnumE1ELi2ELNS_10TailNumberE10EEEvNT_8ArgumentE
; %bb.0:
	s_load_dword s0, s[4:5], 0x70
	s_load_dwordx8 s[8:15], s[4:5], 0x10
	s_mov_b64 s[24:25], 0
	s_waitcnt lgkmcnt(0)
	s_lshr_b32 s2, s0, 24
	s_cmp_gt_i32 s15, 1
	s_cselect_b64 s[0:1], -1, 0
	s_bitcmp1_b32 s2, 0
	s_cselect_b64 s[2:3], -1, 0
	s_and_b64 s[0:1], s[0:1], s[2:3]
	s_andn2_b64 vcc, exec, s[0:1]
	s_cbranch_vccnz .LBB1_2
; %bb.1:
	s_mul_i32 s0, s8, s7
	s_mul_i32 s24, s0, s9
	s_ashr_i32 s25, s24, 31
.LBB1_2:
	s_load_dword s3, s[4:5], 0x38
	s_load_dword s2, s[4:5], 0x40
	s_load_dwordx8 s[16:23], s[4:5], 0x50
	s_add_i32 s0, s8, -1
	s_mov_b32 s27, 0
	s_cmpk_lt_u32 s0, 0x80
	s_movk_i32 s28, 0x80
	s_cbranch_scc1 .LBB1_6
; %bb.3:
	s_add_i32 s0, s9, -1
	s_cmpk_lt_u32 s0, 0x80
	s_mov_b32 s0, 0
	s_cbranch_scc1 .LBB1_10
; %bb.4:
	s_add_i32 s0, s8, 0x7f
	s_ashr_i32 s1, s0, 31
	s_lshr_b32 s1, s1, 25
	s_add_i32 s0, s0, s1
	s_ashr_i32 s5, s0, 7
	s_add_i32 s0, s9, 0x7f
	s_ashr_i32 s1, s0, 31
	s_lshr_b32 s1, s1, 25
	s_add_i32 s0, s0, s1
	s_ashr_i32 s4, s0, 7
	s_mul_i32 s0, s4, s5
	s_add_i32 s1, s0, 7
	s_ashr_i32 s26, s1, 31
	s_lshr_b32 s26, s26, 29
	s_add_i32 s1, s1, s26
	s_ashr_i32 s26, s1, 3
	s_and_b32 s1, s1, -8
	s_sub_i32 s29, s0, s1
	s_ashr_i32 s0, s6, 31
	s_lshr_b32 s0, s0, 29
	s_add_i32 s31, s6, s0
	s_and_b32 s0, s31, -8
	s_add_i32 s29, s29, 8
	s_sub_i32 s30, s6, s0
	s_cmp_gt_i32 s30, s29
	s_cbranch_scc1 .LBB1_7
; %bb.5:
	s_mul_i32 s6, s26, s30
	s_ashr_i32 s0, s31, 3
	s_cbranch_execz .LBB1_8
	s_branch .LBB1_9
.LBB1_6:
	s_mov_b32 s26, 0
	s_branch .LBB1_11
.LBB1_7:
                                        ; implicit-def: $sgpr6
	s_ashr_i32 s0, s31, 3
.LBB1_8:
	s_add_i32 s1, s26, -1
	s_mul_i32 s1, s1, s30
	s_add_i32 s6, s29, s1
.LBB1_9:
	s_abs_i32 s1, s4
	v_cvt_f32_u32_e32 v1, s1
	s_sub_i32 s29, 0, s1
	s_add_i32 s0, s6, s0
	s_abs_i32 s26, s0
	v_rcp_iflag_f32_e32 v1, v1
	s_xor_b32 s6, s0, s4
	s_ashr_i32 s6, s6, 31
	v_mul_f32_e32 v1, 0x4f7ffffe, v1
	v_cvt_u32_f32_e32 v1, v1
	v_readfirstlane_b32 s30, v1
	s_mul_i32 s29, s29, s30
	s_mul_hi_u32 s29, s30, s29
	s_add_i32 s30, s30, s29
	s_mul_hi_u32 s29, s26, s30
	s_mul_i32 s30, s29, s1
	s_sub_i32 s26, s26, s30
	s_add_i32 s31, s29, 1
	s_sub_i32 s30, s26, s1
	s_cmp_ge_u32 s26, s1
	s_cselect_b32 s29, s31, s29
	s_cselect_b32 s26, s30, s26
	s_add_i32 s30, s29, 1
	s_cmp_ge_u32 s26, s1
	s_cselect_b32 s1, s30, s29
	s_xor_b32 s1, s1, s6
	s_lshr_b32 s26, s5, 30
	s_sub_i32 s1, s1, s6
	s_add_i32 s26, s5, s26
	s_mul_i32 s6, s1, s4
	s_sub_i32 s0, s0, s6
	s_and_b32 s6, s26, -4
	s_sub_i32 s5, s5, s6
	s_cmp_ge_i32 s1, s6
	s_cselect_b32 s5, s5, 4
	s_abs_i32 s26, s5
	v_cvt_f32_u32_e32 v1, s26
	s_ashr_i32 s6, s1, 31
	s_lshr_b32 s6, s6, 30
	s_add_i32 s6, s1, s6
	v_rcp_iflag_f32_e32 v1, v1
	s_and_b32 s6, s6, -4
	s_sub_i32 s6, s1, s6
	s_sub_i32 s30, 0, s26
	v_mul_f32_e32 v1, 0x4f7ffffe, v1
	v_cvt_u32_f32_e32 v1, v1
	s_mul_i32 s4, s6, s4
	s_add_i32 s4, s4, s0
	s_abs_i32 s29, s4
	v_readfirstlane_b32 s31, v1
	s_mul_i32 s30, s30, s31
	s_mul_hi_u32 s30, s31, s30
	s_add_i32 s31, s31, s30
	s_mul_hi_u32 s30, s29, s31
	s_mul_i32 s31, s30, s26
	s_xor_b32 s0, s4, s5
	s_sub_i32 s29, s29, s31
	s_ashr_i32 s0, s0, 31
	s_add_i32 s31, s30, 1
	s_sub_i32 s33, s29, s26
	s_cmp_ge_u32 s29, s26
	s_cselect_b32 s30, s31, s30
	s_cselect_b32 s29, s33, s29
	s_add_i32 s31, s30, 1
	s_cmp_ge_u32 s29, s26
	s_cselect_b32 s26, s31, s30
	s_xor_b32 s26, s26, s0
	s_sub_i32 s0, s26, s0
	s_mul_i32 s5, s0, s5
	s_sub_i32 s4, s4, s5
	s_add_i32 s4, s4, s1
	s_sub_i32 s6, s4, s6
.LBB1_10:
	s_mov_b32 s26, s6
	s_mov_b32 s6, s0
.LBB1_11:
	s_waitcnt lgkmcnt(0)
	s_mul_i32 s0, s3, s7
	s_mul_i32 s1, s0, s9
	s_lshr_b32 s4, s1, 31
	s_add_i32 s1, s1, s4
	s_ashr_i32 s4, s1, 1
	s_ashr_i32 s1, s3, 31
	s_lshr_b32 s1, s1, 25
	s_add_i32 s1, s3, s1
	s_ashr_i32 s1, s1, 7
	s_mul_i32 s30, s1, s7
	s_add_i32 s1, s15, -1
	s_mul_i32 s5, s1, s3
	s_sub_i32 s5, s10, s5
	s_cmp_gt_i32 s1, s7
	s_cselect_b32 s3, s3, s5
	s_ashr_i32 s1, s0, 31
	s_lshl_b64 s[0:1], s[0:1], 1
	s_add_u32 s0, s16, s0
	s_addc_u32 s1, s17, s1
	s_ashr_i32 s5, s4, 31
	s_add_u32 s4, s18, s4
	s_addc_u32 s5, s19, s5
	s_ashr_i32 s31, s30, 31
	s_lshl_b64 s[16:17], s[30:31], 1
	s_add_u32 s16, s22, s16
	s_addc_u32 s17, s23, s17
	s_add_u32 s10, 0, 0
	s_addc_u32 s15, s8, -1
	s_ashr_i32 s18, s12, 31
	s_lshr_b32 s18, s18, 26
	s_add_i32 s12, s12, s18
	s_ashr_i32 s12, s12, 6
	s_mul_i32 s18, s9, s12
	s_add_i32 s12, s3, 0x7f
	s_ashr_i32 s19, s12, 31
	v_lshrrev_b32_e32 v90, 1, v0
	s_lshr_b32 s19, s19, 25
	s_lshl_b32 s23, s26, 7
	v_and_b32_e32 v26, 7, v0
	v_and_b32_e32 v1, 0x7c, v90
	;; [unrolled: 1-line block ×3, first 2 shown]
	s_add_i32 s12, s12, s19
	s_add_i32 s19, s9, -1
	v_add_u32_e32 v5, s23, v1
	v_xor_b32_e32 v91, v27, v26
	v_lshlrev_b32_e32 v1, 6, v1
	s_ashr_i32 s12, s12, 7
	s_mul_i32 s19, s14, s19
	v_lshl_or_b32 v28, v91, 3, v1
	v_lshlrev_b32_e32 v1, 1, v0
	s_add_i32 s19, s12, s19
	s_lshl_b32 s12, s6, 7
	v_and_b32_e32 v29, 2, v1
	v_add_u32_e32 v1, s12, v90
	v_lshlrev_b32_e32 v6, 4, v29
	v_lshl_or_b32 v24, v1, 6, v6
	v_bfe_u32 v6, v0, 1, 2
	v_lshrrev_b32_e32 v1, 3, v0
	v_lshl_or_b32 v30, v29, 2, v6
	v_bfe_u32 v31, v0, 3, 4
	v_xor_b32_e32 v32, v30, v31
	v_lshlrev_b32_e32 v1, 8, v1
	v_lshl_or_b32 v33, v32, 4, v1
	v_and_b32_e32 v1, 63, v0
	v_and_b32_e32 v6, 48, v0
	v_sub_u32_e32 v34, v1, v6
	v_lshrrev_b16_e32 v1, 12, v34
	v_and_b32_e32 v1, 7, v1
	v_add_u16_e32 v1, v34, v1
	v_and_b32_e32 v1, 0xf8, v1
	v_sub_u16_e32 v36, v34, v1
	v_lshrrev_b32_e32 v1, 2, v0
	v_and_b32_e32 v1, 48, v1
	v_lshrrev_b32_e32 v35, 3, v6
	v_add_u32_e32 v86, v34, v1
	v_lshrrev_b32_e32 v87, 2, v6
	v_mov_b32_e32 v6, 13
	v_lshrrev_b16_sdwa v6, v6, sext(v86) dst_sel:DWORD dst_unused:UNUSED_PAD src0_sel:DWORD src1_sel:BYTE_0
	v_and_b32_e32 v6, 3, v6
	v_add_u16_e32 v6, v86, v6
	v_mov_b32_e32 v167, 2
	v_mov_b32_e32 v9, 11
	v_ashrrev_i16_sdwa v7, v167, sext(v6) dst_sel:DWORD dst_unused:UNUSED_PAD src0_sel:DWORD src1_sel:BYTE_0
	v_and_b32_e32 v8, 0xfc, v6
	v_lshrrev_b16_sdwa v6, v9, sext(v6) dst_sel:DWORD dst_unused:UNUSED_PAD src0_sel:DWORD src1_sel:BYTE_0
	v_and_b32_e32 v6, 15, v6
	v_add_u16_e32 v6, v7, v6
	v_sub_u16_e32 v8, v86, v8
	v_and_b32_e32 v6, -16, v6
	s_ashr_i32 s6, s2, 31
	v_add_u32_sdwa v8, v87, sext(v8) dst_sel:DWORD dst_unused:UNUSED_PAD src0_sel:DWORD src1_sel:BYTE_0
	v_sub_u16_e32 v6, v7, v6
	s_lshr_b32 s6, s6, 29
	v_and_or_b32 v1, v0, 15, v1
	v_lshlrev_b32_e32 v4, 3, v26
	v_mul_lo_u32 v3, v5, s11
	v_xor_b32_sdwa v88, v8, sext(v6) dst_sel:DWORD dst_unused:UNUSED_PAD src0_sel:DWORD src1_sel:WORD_0
	s_add_i32 s2, s2, s6
	v_or_b32_e32 v6, s12, v1
	s_mul_i32 s7, s15, s11
	s_lshl_b32 s22, s9, 6
	v_add_u32_e32 v2, v3, v4
	v_mov_b32_e32 v166, 2
	v_xor_b32_sdwa v37, v35, sext(v36) dst_sel:DWORD dst_unused:UNUSED_PAD src0_sel:DWORD src1_sel:BYTE_0
	v_lshlrev_b32_e32 v89, 4, v88
	v_lshlrev_b32_e32 v92, 8, v7
	s_ashr_i32 s30, s2, 3
	v_mul_lo_u32 v168, v6, s14
	; sched_barrier mask(0x00000000)
	v_lshlrev_b32_e32 v93, 1, v2
	v_add_u32_e32 v2, s11, v2
	s_add_i32 s3, s3, s7
	v_lshlrev_b32_e32 v14, 1, v2
	v_add_u32_e32 v2, s11, v2
	s_lshl_b32 s2, s3, 1
	s_mov_b32 s3, 0x20000
	v_lshlrev_b32_e32 v25, 1, v2
	v_add_u32_e32 v2, s11, v2
	buffer_load_dwordx4 v[6:9], v93, s[0:3], 0 offen
	buffer_load_dwordx4 v[10:13], v14, s[0:3], 0 offen
	v_ashrrev_i32_e32 v14, 1, v24
	s_lshl_b32 s6, s18, 5
	s_mov_b32 s7, s3
	v_lshlrev_b32_e32 v38, 1, v2
	buffer_load_dwordx2 v[22:23], v14, s[4:7], 0 offen
	s_nop 0
	buffer_load_dwordx4 v[14:17], v25, s[0:3], 0 offen
	buffer_load_dwordx4 v[18:21], v38, s[0:3], 0 offen
	v_or_b32_e32 v38, 1, v29
	v_sub_u32_e32 v25, v38, v29
	v_lshlrev_b32_e32 v39, 4, v25
	v_add_u32_e32 v40, v24, v39
	v_ashrrev_i32_e32 v24, 1, v40
	buffer_load_dwordx2 v[24:25], v24, s[4:7], 0 offen
	s_lshl_b32 s18, s19, 1
	v_lshlrev_b32_e32 v41, 1, v168
	s_lshl_b32 s14, s14, 7
	s_mov_b32 s19, s3
	v_sub_u32_e32 v29, v29, v38
	v_add_u32_e32 v38, s14, v41
	buffer_load_ushort v95, v41, s[16:19], 0 offen
	buffer_load_ushort v96, v38, s[16:19], 0 offen
	v_or_b32_e32 v30, 4, v30
	v_xor_b32_e32 v30, v30, v31
	v_or_b32_e32 v43, 1, v27
	v_lshl_add_u32 v29, v29, 4, s22
	v_sub_u32_e32 v30, v30, v32
	v_lshrrev_b32_e32 v169, 1, v33
	v_xor_b32_e32 v43, v43, v26
	v_lshl_add_u32 v30, v30, 4, v33
	v_add_u32_e32 v33, v40, v29
	v_lshlrev_b32_e32 v42, 1, v28
	v_or_b32_e32 v44, 2, v27
	v_sub_u32_e32 v31, v43, v91
	v_ashrrev_i32_e32 v40, 1, v33
	v_add_u32_e32 v33, v33, v39
	v_or_b32_e32 v27, 3, v27
	v_xor_b32_e32 v94, v44, v26
	v_lshlrev_b32_e32 v170, 3, v31
	v_lshl_add_u32 v31, v31, 4, v42
	v_ashrrev_i32_e32 v39, 1, v33
	buffer_load_dwordx2 v[154:155], v40, s[4:7], 0 offen
	buffer_load_dwordx2 v[156:157], v39, s[4:7], 0 offen
	v_xor_b32_e32 v27, v27, v26
	v_sub_u32_e32 v38, v94, v43
	s_mul_i32 s23, s11, -3
	v_sub_u32_e32 v41, v27, v94
	v_lshlrev_b32_e32 v32, 4, v38
	v_add3_u32 v2, s23, 64, v2
	v_lshlrev_b32_e32 v171, 3, v38
	v_lshlrev_b32_e32 v38, 4, v41
	v_add3_u32 v32, v31, s28, v32
	v_and_b32_e32 v44, 0x7ff8, v169
	v_add3_u32 v38, v32, s28, v38
	v_ashrrev_i32_e32 v175, 1, v30
	v_and_b32_e32 v97, v89, v92
	v_xor_b32_e32 v92, v89, v92
	v_ashrrev_i16_e32 v92, 1, v92
	v_add_u16_e32 v92, v97, v92
	v_add_u32_e32 v86, 64, v86
	v_add_u32_e32 v172, 64, v171
	;; [unrolled: 1-line block ×3, first 2 shown]
	v_bfe_i32 v185, v92, 0, 16
	v_lshrrev_b32_e32 v92, 2, v86
	v_and_or_b32 v87, v0, 3, v87
	v_bfe_u32 v86, v86, 2, 4
	v_sub_u32_e32 v27, v91, v27
	v_add3_u32 v28, v173, v28, v172
	v_xor_b32_e32 v86, v86, v87
	s_movk_i32 s29, 0xff80
	v_lshlrev_b32_e32 v27, 3, v27
	v_lshl_add_u32 v28, v41, 3, v28
	v_sub_u32_e32 v86, v86, v88
	v_add3_u32 v174, v28, v27, s29
	v_add_u32_e32 v176, v33, v29
	v_lshlrev_b32_e32 v88, 4, v86
	s_waitcnt vmcnt(9)
	ds_write_b128 v42, v[6:9]
	s_waitcnt vmcnt(8)
	ds_write_b128 v31, v[10:13] offset:128
	v_lshlrev_b32_e32 v92, 8, v92
	v_add3_u32 v88, v89, v92, v88
	v_ashrrev_i32_e32 v186, 1, v88
	s_mov_b32 s23, 0xe408
	s_waitcnt vmcnt(7)
	v_and_b32_e32 v6, 0xff000000, v23
	v_and_b32_e32 v7, 0xff0000, v23
	;; [unrolled: 1-line block ×4, first 2 shown]
	v_or_b32_e32 v6, v7, v6
	v_or3_b32 v23, v6, v8, v9
	s_waitcnt vmcnt(6)
	ds_write_b128 v32, v[14:17] offset:128
	s_waitcnt vmcnt(4)
	v_and_b32_e32 v6, 0xff000000, v25
	v_and_b32_e32 v7, 0xff0000, v25
	;; [unrolled: 1-line block ×3, first 2 shown]
	v_or_b32_e32 v6, v7, v6
	v_and_b32_e32 v7, 0xff, v25
	v_or3_b32 v25, v6, v8, v7
	v_lshlrev_b32_e32 v6, 1, v2
	v_add_u32_e32 v2, s11, v2
	ds_write_b128 v38, v[18:21] offset:128
	ds_write_b64 v44, v[22:23] offset:16384
	ds_write_b64 v175, v[24:25] offset:16384
	v_lshlrev_b32_e32 v7, 1, v2
	v_add_u32_e32 v2, s11, v2
	buffer_load_dwordx4 v[42:45], v6, s[0:3], 0 offen
	buffer_load_dwordx4 v[46:49], v7, s[0:3], 0 offen
	v_lshlrev_b32_e32 v6, 1, v2
	v_add_lshl_u32 v2, v2, s11, 1
	buffer_load_dwordx4 v[50:53], v6, s[0:3], 0 offen
	buffer_load_dwordx4 v[54:57], v2, s[0:3], 0 offen
	v_or_b32_e32 v7, 1, v35
	v_lshlrev_b32_e32 v6, 7, v34
	v_xor_b32_sdwa v8, v7, sext(v36) dst_sel:DWORD dst_unused:UNUSED_PAD src0_sel:DWORD src1_sel:BYTE_0
	v_lshl_add_u32 v177, v37, 4, v6
	v_lshl_add_u32 v178, v8, 4, v6
	v_add_u16_e32 v6, 16, v34
	v_mov_b32_e32 v8, 12
	v_lshrrev_b16_sdwa v8, v8, sext(v6) dst_sel:DWORD dst_unused:UNUSED_PAD src0_sel:DWORD src1_sel:BYTE_0
	v_and_b32_e32 v8, 7, v8
	v_add_u16_e32 v8, v6, v8
	v_and_b32_e32 v8, 0xf8, v8
	v_sub_u16_e32 v6, v6, v8
	v_xor_b32_sdwa v8, v35, sext(v6) dst_sel:DWORD dst_unused:UNUSED_PAD src0_sel:DWORD src1_sel:BYTE_0
	v_xor_b32_sdwa v6, v7, sext(v6) dst_sel:DWORD dst_unused:UNUSED_PAD src0_sel:DWORD src1_sel:BYTE_0
	v_sub_u32_e32 v6, v6, v37
	v_sub_u32_e32 v8, v8, v37
	v_lshlrev_b32_e32 v6, 4, v6
	v_lshlrev_b32_e32 v8, 4, v8
	v_add_u32_e32 v180, v177, v6
	v_add_u16_e32 v6, 32, v34
	v_add_u32_e32 v179, v177, v8
	v_lshrrev_b16_e32 v8, 13, v6
	v_add_u16_e32 v8, v6, v8
	v_and_b32_e32 v8, -8, v8
	v_sub_u16_e32 v6, v6, v8
	v_xor_b32_sdwa v8, v35, sext(v6) dst_sel:DWORD dst_unused:UNUSED_PAD src0_sel:DWORD src1_sel:WORD_0
	v_xor_b32_sdwa v6, v7, sext(v6) dst_sel:DWORD dst_unused:UNUSED_PAD src0_sel:DWORD src1_sel:WORD_0
	v_sub_u32_e32 v6, v6, v37
	v_lshlrev_b32_e32 v6, 4, v6
	v_add_u32_e32 v182, v177, v6
	v_xor_b32_e32 v6, v35, v26
	v_sub_u32_e32 v8, v8, v37
	v_sub_u32_e32 v6, v6, v37
	v_lshlrev_b32_e32 v8, 4, v8
	v_lshl_add_u32 v183, v6, 4, v177
	v_xor_b32_e32 v6, v7, v26
	v_add_u32_e32 v181, v177, v8
	v_sub_u32_e32 v6, v6, v37
	s_waitcnt lgkmcnt(0)
	s_barrier
	ds_read_b128 v[82:85], v177
	ds_read_b128 v[78:81], v178
	ds_read_b128 v[74:77], v179 offset:2048
	ds_read_b128 v[70:73], v180 offset:2048
	;; [unrolled: 1-line block ×4, first 2 shown]
	v_lshl_add_u32 v184, v6, 4, v177
	ds_read_b128 v[34:37], v183 offset:6144
	ds_read_b128 v[30:33], v183 offset:8192
	ds_read_b128 v[26:29], v184 offset:8192
	ds_read_b128 v[22:25], v184 offset:10240
	ds_read_b128 v[18:21], v183 offset:10240
	ds_read_b128 v[58:61], v183 offset:12288
	ds_read_b128 v[38:41], v184 offset:6144
	ds_read_b128 v[10:13], v183 offset:14336
	ds_read_b128 v[14:17], v184 offset:12288
	ds_read_b128 v[6:9], v184 offset:14336
	ds_read_b64 v[86:87], v185 offset:16384
	ds_read_b64 v[88:89], v186 offset:16384
	s_movk_i32 s29, 0x2c00
	v_mov_b32_e32 v187, 0xd480
	v_mov_b32_e32 v2, 0
	s_waitcnt lgkmcnt(1)
	v_and_b32_e32 v92, 0xf000f, v86
	v_or_b32_e32 v92, 0x64006400, v92
	v_and_b32_e32 v97, 0xf000f0, v86
	v_pk_add_f16 v92, v92, s23 op_sel_hi:[1,0]
	v_ashrrev_i32_e32 v86, 8, v86
	s_waitcnt vmcnt(7)
	v_pk_mul_f16 v146, v95, v92 op_sel_hi:[0,1]
	v_and_b32_e32 v92, 0xf000f, v86
	v_and_b32_e32 v86, 0xf000f0, v86
	v_or_b32_e32 v86, 0x64006400, v86
	v_pk_fma_f16 v86, v86, s29, v187 op_sel_hi:[1,0,0]
	v_pk_mul_f16 v149, v95, v86 op_sel_hi:[0,1]
	v_and_b32_e32 v86, 0xf000f, v87
	v_or_b32_e32 v86, 0x64006400, v86
	v_or_b32_e32 v92, 0x64006400, v92
	v_pk_add_f16 v86, v86, s23 op_sel_hi:[1,0]
	v_pk_add_f16 v92, v92, s23 op_sel_hi:[1,0]
	v_pk_mul_f16 v150, v95, v86 op_sel_hi:[0,1]
	v_ashrrev_i32_e32 v86, 8, v87
	v_pk_mul_f16 v148, v95, v92 op_sel_hi:[0,1]
	v_and_b32_e32 v92, 0xf000f0, v87
	v_and_b32_e32 v87, 0xf000f, v86
	;; [unrolled: 1-line block ×3, first 2 shown]
	v_or_b32_e32 v86, 0x64006400, v86
	v_or_b32_e32 v87, 0x64006400, v87
	v_pk_fma_f16 v86, v86, s29, v187 op_sel_hi:[1,0,0]
	v_pk_add_f16 v87, v87, s23 op_sel_hi:[1,0]
	v_pk_mul_f16 v153, v95, v86 op_sel_hi:[0,1]
	s_waitcnt lgkmcnt(0)
	v_and_b32_e32 v86, 0xf000f, v88
	v_pk_mul_f16 v152, v95, v87 op_sel_hi:[0,1]
	v_or_b32_e32 v86, 0x64006400, v86
	v_and_b32_e32 v87, 0xf000f0, v88
	v_or_b32_e32 v87, 0x64006400, v87
	v_pk_add_f16 v86, v86, s23 op_sel_hi:[1,0]
	v_pk_fma_f16 v87, v87, s29, v187 op_sel_hi:[1,0,0]
	s_waitcnt vmcnt(6)
	v_pk_mul_f16 v162, v96, v86 op_sel_hi:[0,1]
	v_ashrrev_i32_e32 v86, 8, v88
	v_pk_mul_f16 v163, v96, v87 op_sel_hi:[0,1]
	v_and_b32_e32 v87, 0xf000f, v86
	v_and_b32_e32 v86, 0xf000f0, v86
	v_or_b32_e32 v86, 0x64006400, v86
	v_or_b32_e32 v87, 0x64006400, v87
	v_pk_fma_f16 v86, v86, s29, v187 op_sel_hi:[1,0,0]
	v_pk_add_f16 v87, v87, s23 op_sel_hi:[1,0]
	v_pk_mul_f16 v165, v96, v86 op_sel_hi:[0,1]
	v_and_b32_e32 v86, 0xf000f, v89
	v_pk_mul_f16 v164, v96, v87 op_sel_hi:[0,1]
	v_or_b32_e32 v86, 0x64006400, v86
	v_and_b32_e32 v87, 0xf000f0, v89
	v_or_b32_e32 v87, 0x64006400, v87
	v_pk_add_f16 v86, v86, s23 op_sel_hi:[1,0]
	v_pk_fma_f16 v87, v87, s29, v187 op_sel_hi:[1,0,0]
	v_pk_mul_f16 v160, v96, v86 op_sel_hi:[0,1]
	v_ashrrev_i32_e32 v86, 8, v89
	v_pk_mul_f16 v161, v96, v87 op_sel_hi:[0,1]
	v_and_b32_e32 v87, 0xf000f, v86
	v_and_b32_e32 v86, 0xf000f0, v86
	v_or_b32_e32 v97, 0x64006400, v97
	v_or_b32_e32 v92, 0x64006400, v92
	;; [unrolled: 1-line block ×4, first 2 shown]
	v_pk_fma_f16 v97, v97, s29, v187 op_sel_hi:[1,0,0]
	v_pk_fma_f16 v92, v92, s29, v187 op_sel_hi:[1,0,0]
	v_pk_add_f16 v87, v87, s23 op_sel_hi:[1,0]
	v_pk_fma_f16 v86, v86, s29, v187 op_sel_hi:[1,0,0]
	v_pk_mul_f16 v147, v95, v97 op_sel_hi:[0,1]
	v_pk_mul_f16 v151, v95, v92 op_sel_hi:[0,1]
	;; [unrolled: 1-line block ×4, first 2 shown]
	; sched_barrier mask(0x00000000)
	v_or_b32_e32 v86, 3, v90
	v_xor_b32_e32 v86, v86, v0
	v_and_b32_e32 v86, 7, v86
	v_sub_u32_e32 v87, v86, v94
	v_lshlrev_b32_e32 v188, 3, v87
	v_sub_u32_e32 v86, v91, v86
	v_mov_b32_e32 v87, 0xffffff40
	v_lshl_add_u32 v190, v86, 3, v87
	v_add_u32_e32 v86, 3, v5
	v_mad_u64_u32 v[86:87], s[34:35], s11, v86, v[4:5]
	v_mov_b32_e32 v88, 0x100
	v_add_u32_e32 v5, 2, v5
	s_add_i32 s30, s30, -1
	v_lshl_add_u32 v191, v86, 1, v88
	v_mad_u64_u32 v[86:87], s[34:35], s11, v5, v[4:5]
	v_add3_u32 v3, v3, s11, v4
	s_max_i32 s30, s30, 1
	v_add_u32_e32 v189, 64, v188
	v_lshl_add_u32 v192, v86, 1, v88
	v_lshl_add_u32 v193, v3, 1, v88
	v_add_u32_e32 v194, 0x100, v93
	s_movk_i32 s11, 0x90
	v_mov_b32_e32 v195, 2
	v_mov_b32_e32 v3, v2
	;; [unrolled: 1-line block ×64, first 2 shown]
.LBB1_12:                               ; =>This Inner Loop Header: Depth=1
	v_lshlrev_b32_e32 v196, 1, v174
	s_waitcnt lgkmcnt(0)
	s_barrier
	s_waitcnt vmcnt(3)
	ds_write_b128 v196, v[42:45]
	v_mfma_f32_16x16x16f16 v[2:5], v[10:11], v[162:163], v[2:5]
	buffer_load_dwordx4 v[42:45], v194, s[0:3], 0 offen
	v_lshl_add_u32 v196, v170, 1, v196
	s_andn2_b32 s31, 1, s27
	; sched_group_barrier mask(0x00000200) size(1) SyncID(0)
	; sched_group_barrier mask(0x00000008) size(1) SyncID(0)
	;; [unrolled: 1-line block ×3, first 2 shown]
	v_mfma_f32_16x16x16f16 v[142:145], v[82:83], v[146:147], v[142:145]
	v_mfma_f32_16x16x16f16 v[138:141], v[82:83], v[162:163], v[138:141]
	;; [unrolled: 1-line block ×6, first 2 shown]
	s_waitcnt vmcnt(3)
	ds_write_b128 v196, v[46:49] offset:128
	; sched_group_barrier mask(0x00000008) size(6) SyncID(0)
	; sched_group_barrier mask(0x00000200) size(1) SyncID(0)
	v_mfma_f32_16x16x16f16 v[138:141], v[78:79], v[150:151], v[142:145]
	buffer_load_dwordx4 v[46:49], v193, s[0:3], 0 offen
	; sched_group_barrier mask(0x00000008) size(1) SyncID(0)
	; sched_group_barrier mask(0x00000020) size(1) SyncID(0)
	v_mfma_f32_16x16x16f16 v[82:85], v[78:79], v[160:161], v[82:85]
	v_mfma_f32_16x16x16f16 v[142:145], v[80:81], v[152:153], v[138:141]
	;; [unrolled: 1-line block ×6, first 2 shown]
	; sched_group_barrier mask(0x00000008) size(6) SyncID(0)
	v_mfma_f32_16x16x16f16 v[78:81], v[76:77], v[148:149], v[78:81]
	v_mfma_f32_16x16x16f16 v[78:81], v[70:71], v[150:151], v[78:81]
	;; [unrolled: 1-line block ×4, first 2 shown]
	s_nop 7
	s_nop 0
	v_lshlrev_b32_e32 v78, 1, v171
	v_add3_u32 v196, v196, s28, v78
	v_mfma_f32_16x16x16f16 v[74:77], v[70:71], v[160:161], v[74:77]
	v_mfma_f32_16x16x16f16 v[78:81], v[66:67], v[146:147], v[122:125]
	;; [unrolled: 1-line block ×3, first 2 shown]
	s_waitcnt vmcnt(3)
	ds_write_b128 v196, v[50:53] offset:128
	v_lshlrev_b32_e32 v66, 1, v188
	v_add3_u32 v66, v196, s28, v66
	v_mfma_f32_16x16x16f16 v[130:133], v[72:73], v[158:159], v[74:77]
	v_mfma_f32_16x16x16f16 v[70:73], v[68:69], v[148:149], v[78:81]
	;; [unrolled: 1-line block ×6, first 2 shown]
	s_waitcnt vmcnt(2)
	ds_write_b128 v66, v[54:57] offset:128
	v_mfma_f32_16x16x16f16 v[66:69], v[68:69], v[164:165], v[82:85]
	v_mfma_f32_16x16x16f16 v[66:69], v[62:63], v[160:161], v[66:69]
	;; [unrolled: 1-line block ×5, first 2 shown]
	s_nop 7
	s_nop 1
	v_and_b32_e32 v62, 0xff000000, v155
	v_and_b32_e32 v63, 0xff0000, v155
	;; [unrolled: 1-line block ×4, first 2 shown]
	v_or_b32_e32 v62, v63, v62
	v_or3_b32 v155, v62, v64, v65
	v_mfma_f32_16x16x16f16 v[62:65], v[34:35], v[162:163], v[110:113]
	v_lshrrev_b32_e32 v34, 31, v176
	v_add_u32_e32 v34, v176, v34
	v_ashrrev_i32_e32 v34, 1, v34
	ds_write_b64 v169, v[154:155] offset:16384
	buffer_load_dwordx2 v[154:155], v34, s[4:7], 0 offen
	v_mfma_f32_16x16x16f16 v[34:37], v[36:37], v[164:165], v[62:65]
	v_mfma_f32_16x16x16f16 v[34:37], v[38:39], v[160:161], v[34:37]
	v_and_b32_e32 v39, 0xff000000, v157
	v_lshlrev_b32_e32 v38, 6, v167
	v_mfma_f32_16x16x16f16 v[110:113], v[40:41], v[158:159], v[34:37]
	s_nop 7
	v_and_b32_e32 v34, 0xff0000, v157
	v_and_b32_e32 v35, 0xff00, v157
	;; [unrolled: 1-line block ×3, first 2 shown]
	v_sub_u32_e32 v37, v166, v195
	v_or_b32_e32 v34, v34, v39
	v_or3_b32 v157, v34, v35, v36
	v_sub_u32_e32 v34, s11, v38
	v_mul_lo_u32 v35, s22, v37
	v_add3_u32 v34, v176, v35, v34
	v_lshrrev_b32_e32 v35, 31, v34
	v_add_u32_e32 v34, v34, v35
	v_ashrrev_i32_e32 v34, 1, v34
	ds_write_b64 v175, v[156:157] offset:16384
	buffer_load_dwordx2 v[156:157], v34, s[4:7], 0 offen
	buffer_load_dwordx4 v[50:53], v192, s[0:3], 0 offen
	buffer_load_dwordx4 v[54:57], v191, s[0:3], 0 offen
	v_mfma_f32_16x16x16f16 v[66:69], v[30:31], v[146:147], v[106:109]
	; sched_group_barrier mask(0x00000200) size(1) SyncID(0)
	; sched_group_barrier mask(0x00000008) size(1) SyncID(0)
	;; [unrolled: 1-line block ×15, first 2 shown]
	v_mfma_f32_16x16x16f16 v[62:65], v[32:33], v[148:149], v[66:69]
	v_mfma_f32_16x16x16f16 v[62:65], v[26:27], v[150:151], v[62:65]
	;; [unrolled: 1-line block ×3, first 2 shown]
	; sched_group_barrier mask(0x00000008) size(6) SyncID(0)
	; sched_group_barrier mask(0x00000100) size(1) SyncID(0)
	v_mfma_f32_16x16x16f16 v[34:37], v[30:31], v[162:163], v[102:105]
	; sched_group_barrier mask(0x00000008) size(1) SyncID(0)
	; sched_group_barrier mask(0x00000100) size(1) SyncID(0)
	v_mfma_f32_16x16x16f16 v[38:41], v[18:19], v[146:147], v[98:101]
	;; [unrolled: 3-line block ×5, first 2 shown]
	v_lshlrev_b32_e32 v26, 1, v168
	buffer_load_ushort v196, v26, s[16:19], 0 offen
	v_add_u32_e32 v26, s14, v26
	buffer_load_ushort v197, v26, s[16:19], 0 offen
	s_waitcnt lgkmcnt(0)
	s_barrier
	ds_read_b128 v[82:85], v177
	v_mfma_f32_16x16x16f16 v[102:105], v[28:29], v[158:159], v[30:33]
	ds_read_b128 v[78:81], v178
	v_add_u32_e32 v168, s31, v168
	; sched_group_barrier mask(0x00000008) size(1) SyncID(0)
	; sched_group_barrier mask(0x00000100) size(1) SyncID(0)
	;; [unrolled: 1-line block ×4, first 2 shown]
	v_mfma_f32_16x16x16f16 v[26:29], v[22:23], v[150:151], v[34:37]
	ds_read_b128 v[74:77], v179 offset:2048
	; sched_group_barrier mask(0x00000008) size(1) SyncID(0)
	; sched_group_barrier mask(0x00000100) size(1) SyncID(0)
	v_mfma_f32_16x16x16f16 v[98:101], v[24:25], v[152:153], v[26:29]
	ds_read_b128 v[70:73], v180 offset:2048
	; sched_group_barrier mask(0x00000008) size(1) SyncID(0)
	; sched_group_barrier mask(0x00000100) size(1) SyncID(0)
	;; [unrolled: 4-line block ×4, first 2 shown]
	v_mfma_f32_16x16x16f16 v[18:21], v[22:23], v[160:161], v[18:21]
	ds_read_b128 v[34:37], v183 offset:6144
	v_add3_u32 v22, v173, v174, v172
	v_add3_u32 v174, v189, v22, v190
	; sched_group_barrier mask(0x00000008) size(1) SyncID(0)
	; sched_group_barrier mask(0x00000100) size(1) SyncID(0)
	v_mfma_f32_16x16x16f16 v[94:97], v[24:25], v[158:159], v[18:21]
	ds_read_b128 v[38:41], v184 offset:6144
	; sched_group_barrier mask(0x00000008) size(1) SyncID(0)
	; sched_group_barrier mask(0x00000100) size(1) SyncID(0)
	v_mfma_f32_16x16x16f16 v[18:21], v[58:59], v[146:147], v[86:89]
	ds_read_b128 v[30:33], v183 offset:8192
	;; [unrolled: 4-line block ×4, first 2 shown]
	; sched_group_barrier mask(0x00000008) size(1) SyncID(0)
	; sched_group_barrier mask(0x00000100) size(1) SyncID(0)
	v_mfma_f32_16x16x16f16 v[86:89], v[16:17], v[152:153], v[18:21]
	; sched_group_barrier mask(0x00000008) size(1) SyncID(0)
	v_mfma_f32_16x16x16f16 v[90:93], v[10:11], v[146:147], v[90:93]
	s_nop 7
	ds_read_b128 v[18:21], v183 offset:10240
	ds_read_b64 v[10:11], v186 offset:16384
	; sched_group_barrier mask(0x00000100) size(1) SyncID(0)
	v_mfma_f32_16x16x16f16 v[126:129], v[58:59], v[162:163], v[126:129]
	v_add_u32_e64 v58, 2, s27
	v_sub_u32_e32 v59, v58, v195
	v_add_u32_e64 v195, 3, s27
	v_sub_u32_e32 v58, v195, v58
	v_mul_lo_u32 v59, v59, s22
	v_mul_lo_u32 v58, v58, s22
	v_add3_u32 v176, v59, v176, v58
	v_mfma_f32_16x16x16f16 v[126:129], v[60:61], v[164:165], v[126:129]
	ds_read_b128 v[58:61], v183 offset:12288
	; sched_group_barrier mask(0x00000008) size(1) SyncID(0)
	; sched_group_barrier mask(0x00000100) size(1) SyncID(0)
	; sched_group_barrier mask(0x00000008) size(1) SyncID(0)
	v_mfma_f32_16x16x16f16 v[90:93], v[12:13], v[148:149], v[90:93]
	v_mfma_f32_16x16x16f16 v[126:129], v[14:15], v[160:161], v[126:129]
	ds_read_b64 v[14:15], v185 offset:16384
	s_waitcnt lgkmcnt(0)
	v_and_b32_e32 v160, 0xf000f, v14
	v_and_b32_e32 v161, 0xf000f0, v14
	v_mfma_f32_16x16x16f16 v[90:93], v[6:7], v[150:151], v[90:93]
	v_and_b32_e32 v162, 0xf000f, v15
	v_and_b32_e32 v163, 0xf000f0, v15
	v_ashrrev_i32_e32 v15, 8, v15
	v_or_b32_e32 v160, 0x64006400, v160
	v_or_b32_e32 v161, 0x64006400, v161
	;; [unrolled: 1-line block ×4, first 2 shown]
	v_and_b32_e32 v165, 0xf000f, v15
	v_and_b32_e32 v15, 0xf000f0, v15
	v_ashrrev_i32_e32 v14, 8, v14
	v_pk_add_f16 v160, v160, s23 op_sel_hi:[1,0]
	v_pk_fma_f16 v161, v161, s29, v187 op_sel_hi:[1,0,0]
	v_pk_add_f16 v198, v162, s23 op_sel_hi:[1,0]
	v_pk_fma_f16 v199, v163, s29, v187 op_sel_hi:[1,0,0]
	v_or_b32_e32 v162, 0x64006400, v165
	v_or_b32_e32 v163, 0x64006400, v15
	v_and_b32_e32 v164, 0xf000f, v14
	s_waitcnt vmcnt(1)
	v_pk_mul_f16 v146, v196, v160 op_sel_hi:[0,1]
	v_pk_mul_f16 v147, v196, v161 op_sel_hi:[0,1]
	v_pk_add_f16 v200, v162, s23 op_sel_hi:[1,0]
	v_pk_fma_f16 v201, v163, s29, v187 op_sel_hi:[1,0,0]
	v_and_b32_e32 v160, 0xf000f, v10
	v_and_b32_e32 v161, 0xf000f0, v10
	v_ashrrev_i32_e32 v10, 8, v10
	v_and_b32_e32 v162, 0xf000f, v11
	v_and_b32_e32 v163, 0xf000f0, v11
	v_ashrrev_i32_e32 v11, 8, v11
	v_mfma_f32_16x16x16f16 v[126:129], v[16:17], v[158:159], v[126:129]
	v_or_b32_e32 v158, 0x64006400, v164
	v_and_b32_e32 v164, 0xf000f, v10
	v_and_b32_e32 v10, 0xf000f0, v10
	;; [unrolled: 1-line block ×3, first 2 shown]
	v_pk_add_f16 v158, v158, s23 op_sel_hi:[1,0]
	v_or_b32_e32 v164, 0x64006400, v164
	v_or_b32_e32 v202, 0x64006400, v10
	v_mfma_f32_16x16x16f16 v[90:93], v[8:9], v[152:153], v[90:93]
	v_or_b32_e32 v165, 0x64006400, v165
	v_and_b32_e32 v14, 0xf000f0, v14
	v_and_b32_e32 v11, 0xf000f0, v11
	v_pk_mul_f16 v148, v196, v158 op_sel_hi:[0,1]
	v_pk_add_f16 v158, v164, s23 op_sel_hi:[1,0]
	v_pk_fma_f16 v6, v202, s29, v187 op_sel_hi:[1,0,0]
	v_pk_add_f16 v7, v165, s23 op_sel_hi:[1,0]
	v_or_b32_e32 v159, 0x64006400, v14
	ds_read_b128 v[14:17], v184 offset:12288
	v_or_b32_e32 v205, 0x64006400, v11
	ds_read_b128 v[10:13], v183 offset:14336
	s_waitcnt vmcnt(0)
	v_pk_mul_f16 v164, v197, v158 op_sel_hi:[0,1]
	v_pk_mul_f16 v165, v197, v6 op_sel_hi:[0,1]
	;; [unrolled: 1-line block ×3, first 2 shown]
	ds_read_b128 v[6:9], v184 offset:14336
	v_or_b32_e32 v160, 0x64006400, v160
	v_or_b32_e32 v161, 0x64006400, v161
	;; [unrolled: 1-line block ×4, first 2 shown]
	v_pk_fma_f16 v159, v159, s29, v187 op_sel_hi:[1,0,0]
	v_pk_add_f16 v160, v160, s23 op_sel_hi:[1,0]
	v_pk_fma_f16 v161, v161, s29, v187 op_sel_hi:[1,0,0]
	v_pk_add_f16 v203, v162, s23 op_sel_hi:[1,0]
	v_pk_fma_f16 v204, v163, s29, v187 op_sel_hi:[1,0,0]
	v_pk_fma_f16 v150, v205, s29, v187 op_sel_hi:[1,0,0]
	v_pk_mul_f16 v149, v196, v159 op_sel_hi:[0,1]
	v_pk_mul_f16 v162, v197, v160 op_sel_hi:[0,1]
	;; [unrolled: 1-line block ×10, first 2 shown]
	; sched_barrier mask(0x00000000)
	s_add_i32 s27, s27, 1
	s_add_i32 s11, s11, 64
	v_add_u32_e32 v167, 1, v167
	v_add_u32_e32 v166, 1, v166
	;; [unrolled: 1-line block ×5, first 2 shown]
	s_cmp_lg_u32 s30, s27
	v_add_u32_e32 v194, 0x80, v194
	s_cbranch_scc1 .LBB1_12
; %bb.13:
	v_mfma_f32_16x16x16f16 v[42:45], v[82:83], v[146:147], v[142:145]
	s_lshl_b64 s[0:1], s[24:25], 1
	s_add_u32 s4, s20, s0
	s_mul_i32 s15, s15, s13
	s_mul_hi_u32 s0, s10, s13
	s_addc_u32 s5, s21, s1
	s_add_i32 s6, s0, s15
	v_mfma_f32_16x16x16f16 v[42:45], v[84:85], v[148:149], v[42:45]
	v_mfma_f32_16x16x16f16 v[42:45], v[78:79], v[150:151], v[42:45]
	;; [unrolled: 1-line block ×48, first 2 shown]
	s_waitcnt lgkmcnt(2)
	v_mfma_f32_16x16x16f16 v[18:21], v[14:15], v[150:151], v[18:21]
	v_mfma_f32_16x16x16f16 v[26:29], v[24:25], v[152:153], v[26:29]
	;; [unrolled: 1-line block ×7, first 2 shown]
	s_waitcnt lgkmcnt(1)
	v_mfma_f32_16x16x16f16 v[14:17], v[10:11], v[146:147], v[90:93]
	v_mfma_f32_16x16x16f16 v[2:5], v[10:11], v[162:163], v[2:5]
	;; [unrolled: 1-line block ×4, first 2 shown]
	s_waitcnt lgkmcnt(0)
	v_mfma_f32_16x16x16f16 v[14:17], v[6:7], v[150:151], v[14:17]
	v_mfma_f32_16x16x16f16 v[2:5], v[6:7], v[160:161], v[2:5]
	v_mfma_f32_16x16x16f16 v[14:17], v[8:9], v[152:153], v[14:17]
	v_mfma_f32_16x16x16f16 v[2:5], v[8:9], v[158:159], v[2:5]
	; sched_barrier mask(0x00000000)
	v_lshrrev_b32_e32 v8, 4, v0
	v_lshlrev_b32_e32 v6, 4, v0
	v_lshlrev_b32_e32 v0, 2, v0
	s_movk_i32 s0, 0x300
	v_and_b32_e32 v9, 60, v0
	v_and_or_b32 v1, v6, s0, v1
	v_or_b32_e32 v0, s12, v9
	v_lshl_or_b32 v10, s26, 7, v8
	v_mad_u64_u32 v[6:7], s[0:1], v10, s13, v[0:1]
	v_cvt_f16_f32_e32 v7, v142
	v_lshlrev_b32_e32 v11, 1, v1
	v_cvt_f16_f32_e32 v1, v143
	v_cvt_f16_f32_e32 v12, v144
	;; [unrolled: 1-line block ×3, first 2 shown]
	s_waitcnt lgkmcnt(0)
	s_barrier
	ds_write_b16 v11, v7
	ds_write_b16 v11, v1 offset:128
	ds_write_b16 v11, v12 offset:256
	;; [unrolled: 1-line block ×3, first 2 shown]
	v_lshlrev_b32_e32 v1, 1, v9
	v_lshl_or_b32 v7, v8, 7, v1
	s_waitcnt lgkmcnt(0)
	s_barrier
	ds_read_b64 v[8:9], v7
	v_cmp_gt_i32_e32 vcc, s9, v0
	v_cmp_gt_i32_e64 s[2:3], s8, v10
	s_add_i32 s0, s9, s6
	s_lshl_b32 s6, s0, 1
	v_bfrev_b32_e32 v12, 1
	s_and_b64 s[0:1], s[2:3], vcc
	v_cndmask_b32_e64 v1, v12, 0, s[0:1]
	s_mov_b32 s7, 0x20000
	v_lshl_add_u32 v1, v6, 1, v1
	s_waitcnt lgkmcnt(0)
	buffer_atomic_pk_add_f16 v8, v1, s[4:7], 0 offen
	buffer_atomic_pk_add_f16 v9, v1, s[4:7], 4 offen
	v_or_b32_e32 v8, 64, v0
	v_cvt_f16_f32_e32 v0, v78
	v_cvt_f16_f32_e32 v1, v79
	;; [unrolled: 1-line block ×4, first 2 shown]
	s_waitcnt lgkmcnt(0)
	s_barrier
	ds_write_b16 v11, v0
	ds_write_b16 v11, v1 offset:128
	ds_write_b16 v11, v13 offset:256
	;; [unrolled: 1-line block ×3, first 2 shown]
	s_waitcnt lgkmcnt(0)
	s_barrier
	ds_read_b64 v[0:1], v7
	v_cmp_gt_i32_e64 s[0:1], s9, v8
	s_and_b64 s[2:3], s[2:3], s[0:1]
	v_add_u32_e32 v9, 64, v6
	v_cndmask_b32_e64 v8, v12, 0, s[2:3]
	v_lshl_add_u32 v8, v9, 1, v8
	s_waitcnt lgkmcnt(0)
	buffer_atomic_pk_add_f16 v0, v8, s[4:7], 0 offen
	buffer_atomic_pk_add_f16 v1, v8, s[4:7], 4 offen
	v_cvt_f16_f32_e32 v0, v74
	v_cvt_f16_f32_e32 v1, v75
	;; [unrolled: 1-line block ×4, first 2 shown]
	v_or_b32_e32 v8, 16, v10
	s_waitcnt lgkmcnt(0)
	s_barrier
	ds_write_b16 v11, v0
	ds_write_b16 v11, v1 offset:128
	ds_write_b16 v11, v13 offset:256
	ds_write_b16 v11, v58 offset:384
	s_waitcnt lgkmcnt(0)
	s_barrier
	ds_read_b64 v[0:1], v7
	v_cmp_gt_i32_e64 s[2:3], s8, v8
	s_lshl_b32 s9, s13, 4
	s_and_b64 s[10:11], s[2:3], s[0:1]
	v_add_u32_e32 v9, s9, v9
	v_cndmask_b32_e64 v8, v12, 0, s[10:11]
	v_lshl_add_u32 v8, v9, 1, v8
	s_waitcnt lgkmcnt(0)
	buffer_atomic_pk_add_f16 v0, v8, s[4:7], 0 offen
	buffer_atomic_pk_add_f16 v1, v8, s[4:7], 4 offen
	v_cvt_f16_f32_e32 v0, v54
	v_cvt_f16_f32_e32 v1, v55
	;; [unrolled: 1-line block ×4, first 2 shown]
	s_waitcnt lgkmcnt(0)
	s_barrier
	ds_write_b16 v11, v0
	ds_write_b16 v11, v1 offset:128
	ds_write_b16 v11, v8 offset:256
	;; [unrolled: 1-line block ×3, first 2 shown]
	s_waitcnt lgkmcnt(0)
	s_barrier
	ds_read_b64 v[0:1], v7
	s_and_b64 s[2:3], vcc, s[2:3]
	v_add_u32_e32 v6, s9, v6
	v_cndmask_b32_e64 v8, v12, 0, s[2:3]
	v_lshl_add_u32 v8, v6, 1, v8
	s_waitcnt lgkmcnt(0)
	buffer_atomic_pk_add_f16 v0, v8, s[4:7], 0 offen
	buffer_atomic_pk_add_f16 v1, v8, s[4:7], 4 offen
	v_cvt_f16_f32_e32 v0, v70
	v_cvt_f16_f32_e32 v1, v71
	;; [unrolled: 1-line block ×4, first 2 shown]
	v_or_b32_e32 v8, 32, v10
	s_waitcnt lgkmcnt(0)
	s_barrier
	ds_write_b16 v11, v0
	ds_write_b16 v11, v1 offset:128
	ds_write_b16 v11, v9 offset:256
	ds_write_b16 v11, v13 offset:384
	s_waitcnt lgkmcnt(0)
	s_barrier
	ds_read_b64 v[0:1], v7
	v_cmp_gt_i32_e64 s[2:3], s8, v8
	s_and_b64 s[10:11], vcc, s[2:3]
	v_add_u32_e32 v6, s9, v6
	v_cndmask_b32_e64 v8, v12, 0, s[10:11]
	v_lshl_add_u32 v8, v6, 1, v8
	s_waitcnt lgkmcnt(0)
	buffer_atomic_pk_add_f16 v0, v8, s[4:7], 0 offen
	buffer_atomic_pk_add_f16 v1, v8, s[4:7], 4 offen
	v_cvt_f16_f32_e32 v0, v46
	v_cvt_f16_f32_e32 v1, v47
	;; [unrolled: 1-line block ×4, first 2 shown]
	s_waitcnt lgkmcnt(0)
	s_barrier
	ds_write_b16 v11, v0
	ds_write_b16 v11, v1 offset:128
	ds_write_b16 v11, v8 offset:256
	;; [unrolled: 1-line block ×3, first 2 shown]
	s_waitcnt lgkmcnt(0)
	s_barrier
	ds_read_b64 v[0:1], v7
	s_and_b64 s[2:3], s[2:3], s[0:1]
	v_add_u32_e32 v8, 64, v6
	v_cndmask_b32_e64 v9, v12, 0, s[2:3]
	v_lshl_add_u32 v9, v8, 1, v9
	s_waitcnt lgkmcnt(0)
	buffer_atomic_pk_add_f16 v0, v9, s[4:7], 0 offen
	buffer_atomic_pk_add_f16 v1, v9, s[4:7], 4 offen
	v_cvt_f16_f32_e32 v0, v50
	v_cvt_f16_f32_e32 v1, v51
	;; [unrolled: 1-line block ×4, first 2 shown]
	v_or_b32_e32 v9, 48, v10
	s_waitcnt lgkmcnt(0)
	s_barrier
	ds_write_b16 v11, v0
	ds_write_b16 v11, v1 offset:128
	ds_write_b16 v11, v13 offset:256
	;; [unrolled: 1-line block ×3, first 2 shown]
	s_waitcnt lgkmcnt(0)
	s_barrier
	ds_read_b64 v[0:1], v7
	v_cmp_gt_i32_e64 s[2:3], s8, v9
	s_and_b64 s[10:11], s[2:3], s[0:1]
	v_add_u32_e32 v8, s9, v8
	v_cndmask_b32_e64 v9, v12, 0, s[10:11]
	v_lshl_add_u32 v8, v8, 1, v9
	s_waitcnt lgkmcnt(0)
	buffer_atomic_pk_add_f16 v0, v8, s[4:7], 0 offen
	buffer_atomic_pk_add_f16 v1, v8, s[4:7], 4 offen
	v_cvt_f16_f32_e32 v0, v42
	v_cvt_f16_f32_e32 v1, v43
	;; [unrolled: 1-line block ×4, first 2 shown]
	s_waitcnt lgkmcnt(0)
	s_barrier
	ds_write_b16 v11, v0
	ds_write_b16 v11, v1 offset:128
	ds_write_b16 v11, v8 offset:256
	;; [unrolled: 1-line block ×3, first 2 shown]
	s_waitcnt lgkmcnt(0)
	s_barrier
	ds_read_b64 v[0:1], v7
	s_and_b64 s[2:3], vcc, s[2:3]
	v_add_u32_e32 v6, s9, v6
	v_cndmask_b32_e64 v8, v12, 0, s[2:3]
	v_lshl_add_u32 v8, v6, 1, v8
	s_waitcnt lgkmcnt(0)
	buffer_atomic_pk_add_f16 v0, v8, s[4:7], 0 offen
	buffer_atomic_pk_add_f16 v1, v8, s[4:7], 4 offen
	v_cvt_f16_f32_e32 v0, v38
	v_cvt_f16_f32_e32 v1, v39
	;; [unrolled: 1-line block ×4, first 2 shown]
	v_or_b32_e32 v8, 64, v10
	s_waitcnt lgkmcnt(0)
	s_barrier
	ds_write_b16 v11, v0
	ds_write_b16 v11, v1 offset:128
	ds_write_b16 v11, v9 offset:256
	;; [unrolled: 1-line block ×3, first 2 shown]
	s_waitcnt lgkmcnt(0)
	s_barrier
	ds_read_b64 v[0:1], v7
	v_cmp_gt_i32_e64 s[2:3], s8, v8
	s_and_b64 s[10:11], vcc, s[2:3]
	v_add_u32_e32 v6, s9, v6
	v_cndmask_b32_e64 v8, v12, 0, s[10:11]
	v_lshl_add_u32 v8, v6, 1, v8
	s_waitcnt lgkmcnt(0)
	buffer_atomic_pk_add_f16 v0, v8, s[4:7], 0 offen
	buffer_atomic_pk_add_f16 v1, v8, s[4:7], 4 offen
	v_cvt_f16_f32_e32 v0, v30
	v_cvt_f16_f32_e32 v1, v31
	;; [unrolled: 1-line block ×4, first 2 shown]
	s_waitcnt lgkmcnt(0)
	s_barrier
	ds_write_b16 v11, v0
	ds_write_b16 v11, v1 offset:128
	ds_write_b16 v11, v8 offset:256
	;; [unrolled: 1-line block ×3, first 2 shown]
	s_waitcnt lgkmcnt(0)
	s_barrier
	ds_read_b64 v[0:1], v7
	s_and_b64 s[2:3], s[2:3], s[0:1]
	v_add_u32_e32 v8, 64, v6
	v_cndmask_b32_e64 v9, v12, 0, s[2:3]
	v_lshl_add_u32 v9, v8, 1, v9
	s_waitcnt lgkmcnt(0)
	buffer_atomic_pk_add_f16 v0, v9, s[4:7], 0 offen
	buffer_atomic_pk_add_f16 v1, v9, s[4:7], 4 offen
	v_cvt_f16_f32_e32 v0, v34
	v_cvt_f16_f32_e32 v1, v35
	v_cvt_f16_f32_e32 v13, v36
	v_cvt_f16_f32_e32 v30, v37
	v_or_b32_e32 v9, 0x50, v10
	s_waitcnt lgkmcnt(0)
	s_barrier
	ds_write_b16 v11, v0
	ds_write_b16 v11, v1 offset:128
	ds_write_b16 v11, v13 offset:256
	;; [unrolled: 1-line block ×3, first 2 shown]
	s_waitcnt lgkmcnt(0)
	s_barrier
	ds_read_b64 v[0:1], v7
	v_cmp_gt_i32_e64 s[2:3], s8, v9
	s_and_b64 s[10:11], s[2:3], s[0:1]
	v_add_u32_e32 v8, s9, v8
	v_cndmask_b32_e64 v9, v12, 0, s[10:11]
	v_lshl_add_u32 v8, v8, 1, v9
	s_waitcnt lgkmcnt(0)
	buffer_atomic_pk_add_f16 v0, v8, s[4:7], 0 offen
	buffer_atomic_pk_add_f16 v1, v8, s[4:7], 4 offen
	v_cvt_f16_f32_e32 v0, v26
	v_cvt_f16_f32_e32 v1, v27
	;; [unrolled: 1-line block ×4, first 2 shown]
	s_waitcnt lgkmcnt(0)
	s_barrier
	ds_write_b16 v11, v0
	ds_write_b16 v11, v1 offset:128
	ds_write_b16 v11, v8 offset:256
	;; [unrolled: 1-line block ×3, first 2 shown]
	s_waitcnt lgkmcnt(0)
	s_barrier
	ds_read_b64 v[0:1], v7
	s_and_b64 s[2:3], vcc, s[2:3]
	v_add_u32_e32 v6, s9, v6
	v_cndmask_b32_e64 v8, v12, 0, s[2:3]
	v_lshl_add_u32 v8, v6, 1, v8
	s_waitcnt lgkmcnt(0)
	buffer_atomic_pk_add_f16 v0, v8, s[4:7], 0 offen
	buffer_atomic_pk_add_f16 v1, v8, s[4:7], 4 offen
	v_cvt_f16_f32_e32 v0, v22
	v_cvt_f16_f32_e32 v1, v23
	;; [unrolled: 1-line block ×4, first 2 shown]
	v_or_b32_e32 v8, 0x60, v10
	s_waitcnt lgkmcnt(0)
	s_barrier
	ds_write_b16 v11, v0
	ds_write_b16 v11, v1 offset:128
	ds_write_b16 v11, v9 offset:256
	ds_write_b16 v11, v13 offset:384
	s_waitcnt lgkmcnt(0)
	s_barrier
	ds_read_b64 v[0:1], v7
	v_cmp_gt_i32_e64 s[2:3], s8, v8
	s_and_b64 s[10:11], vcc, s[2:3]
	v_add_u32_e32 v6, s9, v6
	v_cndmask_b32_e64 v8, v12, 0, s[10:11]
	v_lshl_add_u32 v8, v6, 1, v8
	s_waitcnt lgkmcnt(0)
	buffer_atomic_pk_add_f16 v0, v8, s[4:7], 0 offen
	buffer_atomic_pk_add_f16 v1, v8, s[4:7], 4 offen
	v_cvt_f16_f32_e32 v0, v18
	v_cvt_f16_f32_e32 v1, v19
	;; [unrolled: 1-line block ×4, first 2 shown]
	s_waitcnt lgkmcnt(0)
	s_barrier
	ds_write_b16 v11, v0
	ds_write_b16 v11, v1 offset:128
	ds_write_b16 v11, v8 offset:256
	;; [unrolled: 1-line block ×3, first 2 shown]
	s_waitcnt lgkmcnt(0)
	s_barrier
	ds_read_b64 v[0:1], v7
	s_and_b64 s[2:3], s[2:3], s[0:1]
	v_add_u32_e32 v8, 64, v6
	v_cndmask_b32_e64 v9, v12, 0, s[2:3]
	v_lshl_add_u32 v9, v8, 1, v9
	s_waitcnt lgkmcnt(0)
	buffer_atomic_pk_add_f16 v0, v9, s[4:7], 0 offen
	buffer_atomic_pk_add_f16 v1, v9, s[4:7], 4 offen
	v_cvt_f16_f32_e32 v0, v2
	v_cvt_f16_f32_e32 v1, v3
	;; [unrolled: 1-line block ×4, first 2 shown]
	v_or_b32_e32 v9, 0x70, v10
	s_waitcnt lgkmcnt(0)
	s_barrier
	ds_write_b16 v11, v0
	ds_write_b16 v11, v1 offset:128
	ds_write_b16 v11, v2 offset:256
	;; [unrolled: 1-line block ×3, first 2 shown]
	s_waitcnt lgkmcnt(0)
	s_barrier
	ds_read_b64 v[0:1], v7
	v_cmp_gt_i32_e64 s[2:3], s8, v9
	s_and_b64 s[0:1], s[2:3], s[0:1]
	v_add_u32_e32 v8, s9, v8
	v_cndmask_b32_e64 v2, v12, 0, s[0:1]
	v_lshl_add_u32 v2, v8, 1, v2
	s_waitcnt lgkmcnt(0)
	buffer_atomic_pk_add_f16 v0, v2, s[4:7], 0 offen
	buffer_atomic_pk_add_f16 v1, v2, s[4:7], 4 offen
	v_cvt_f16_f32_e32 v0, v14
	v_cvt_f16_f32_e32 v1, v15
	;; [unrolled: 1-line block ×4, first 2 shown]
	s_waitcnt lgkmcnt(0)
	s_barrier
	ds_write_b16 v11, v0
	ds_write_b16 v11, v1 offset:128
	ds_write_b16 v11, v2 offset:256
	;; [unrolled: 1-line block ×3, first 2 shown]
	s_waitcnt lgkmcnt(0)
	s_barrier
	ds_read_b64 v[0:1], v7
	s_and_b64 s[0:1], vcc, s[2:3]
	v_add_u32_e32 v2, s9, v6
	v_cndmask_b32_e64 v3, v12, 0, s[0:1]
	v_lshl_add_u32 v2, v2, 1, v3
	s_waitcnt lgkmcnt(0)
	buffer_atomic_pk_add_f16 v0, v2, s[4:7], 0 offen
	buffer_atomic_pk_add_f16 v1, v2, s[4:7], 4 offen
	s_endpgm
	.section	.rodata,"a",@progbits
	.p2align	6, 0x0
	.amdhsa_kernel _ZN2ck27kernel_gemm_xdl_cshuffle_v3INS_28GridwiseGemm_xdl_cshuffle_v3INS_13tensor_layout4gemm8RowMajorENS3_11ColumnMajorES4_DF16_NS_7pk_i4_tEfDF16_DF16_NS_16tensor_operation12element_wise11PassThroughES9_S9_LNS7_6device18GemmSpecializationE0ELi256ELi1ELi128ELi128ELi128ELi64ELi8ELi16ELi16ELi16ELi8ELi2ENS_8SequenceIJLi8ELi32ELi1EEEENSC_IJLi1ELi0ELi2EEEESE_Li2ELi8ELi8ELb0ELi0ENSC_IJLi2ELi128ELi1EEEESE_SE_Li2ELi16ELi16ELb0ELi0ELi1ELi1ENSC_IJLi1ELi16ELi1ELi16EEEELi4ELNS_26BlockGemmPipelineSchedulerE0ELNS_24BlockGemmPipelineVersionE2EDF16_DF16_Lb0ELb1EEELb1ELNS_25InMemoryDataOperationEnumE1ELi2ELNS_10TailNumberE10EEEvNT_8ArgumentE
		.amdhsa_group_segment_fixed_size 20480
		.amdhsa_private_segment_fixed_size 0
		.amdhsa_kernarg_size 120
		.amdhsa_user_sgpr_count 6
		.amdhsa_user_sgpr_private_segment_buffer 1
		.amdhsa_user_sgpr_dispatch_ptr 0
		.amdhsa_user_sgpr_queue_ptr 0
		.amdhsa_user_sgpr_kernarg_segment_ptr 1
		.amdhsa_user_sgpr_dispatch_id 0
		.amdhsa_user_sgpr_flat_scratch_init 0
		.amdhsa_user_sgpr_kernarg_preload_length 0
		.amdhsa_user_sgpr_kernarg_preload_offset 0
		.amdhsa_user_sgpr_private_segment_size 0
		.amdhsa_uses_dynamic_stack 0
		.amdhsa_system_sgpr_private_segment_wavefront_offset 0
		.amdhsa_system_sgpr_workgroup_id_x 1
		.amdhsa_system_sgpr_workgroup_id_y 0
		.amdhsa_system_sgpr_workgroup_id_z 1
		.amdhsa_system_sgpr_workgroup_info 0
		.amdhsa_system_vgpr_workitem_id 0
		.amdhsa_next_free_vgpr 206
		.amdhsa_next_free_sgpr 36
		.amdhsa_accum_offset 208
		.amdhsa_reserve_vcc 1
		.amdhsa_reserve_flat_scratch 0
		.amdhsa_float_round_mode_32 0
		.amdhsa_float_round_mode_16_64 0
		.amdhsa_float_denorm_mode_32 3
		.amdhsa_float_denorm_mode_16_64 3
		.amdhsa_dx10_clamp 1
		.amdhsa_ieee_mode 1
		.amdhsa_fp16_overflow 0
		.amdhsa_tg_split 0
		.amdhsa_exception_fp_ieee_invalid_op 0
		.amdhsa_exception_fp_denorm_src 0
		.amdhsa_exception_fp_ieee_div_zero 0
		.amdhsa_exception_fp_ieee_overflow 0
		.amdhsa_exception_fp_ieee_underflow 0
		.amdhsa_exception_fp_ieee_inexact 0
		.amdhsa_exception_int_div_zero 0
	.end_amdhsa_kernel
	.section	.text._ZN2ck27kernel_gemm_xdl_cshuffle_v3INS_28GridwiseGemm_xdl_cshuffle_v3INS_13tensor_layout4gemm8RowMajorENS3_11ColumnMajorES4_DF16_NS_7pk_i4_tEfDF16_DF16_NS_16tensor_operation12element_wise11PassThroughES9_S9_LNS7_6device18GemmSpecializationE0ELi256ELi1ELi128ELi128ELi128ELi64ELi8ELi16ELi16ELi16ELi8ELi2ENS_8SequenceIJLi8ELi32ELi1EEEENSC_IJLi1ELi0ELi2EEEESE_Li2ELi8ELi8ELb0ELi0ENSC_IJLi2ELi128ELi1EEEESE_SE_Li2ELi16ELi16ELb0ELi0ELi1ELi1ENSC_IJLi1ELi16ELi1ELi16EEEELi4ELNS_26BlockGemmPipelineSchedulerE0ELNS_24BlockGemmPipelineVersionE2EDF16_DF16_Lb0ELb1EEELb1ELNS_25InMemoryDataOperationEnumE1ELi2ELNS_10TailNumberE10EEEvNT_8ArgumentE,"axG",@progbits,_ZN2ck27kernel_gemm_xdl_cshuffle_v3INS_28GridwiseGemm_xdl_cshuffle_v3INS_13tensor_layout4gemm8RowMajorENS3_11ColumnMajorES4_DF16_NS_7pk_i4_tEfDF16_DF16_NS_16tensor_operation12element_wise11PassThroughES9_S9_LNS7_6device18GemmSpecializationE0ELi256ELi1ELi128ELi128ELi128ELi64ELi8ELi16ELi16ELi16ELi8ELi2ENS_8SequenceIJLi8ELi32ELi1EEEENSC_IJLi1ELi0ELi2EEEESE_Li2ELi8ELi8ELb0ELi0ENSC_IJLi2ELi128ELi1EEEESE_SE_Li2ELi16ELi16ELb0ELi0ELi1ELi1ENSC_IJLi1ELi16ELi1ELi16EEEELi4ELNS_26BlockGemmPipelineSchedulerE0ELNS_24BlockGemmPipelineVersionE2EDF16_DF16_Lb0ELb1EEELb1ELNS_25InMemoryDataOperationEnumE1ELi2ELNS_10TailNumberE10EEEvNT_8ArgumentE,comdat
.Lfunc_end1:
	.size	_ZN2ck27kernel_gemm_xdl_cshuffle_v3INS_28GridwiseGemm_xdl_cshuffle_v3INS_13tensor_layout4gemm8RowMajorENS3_11ColumnMajorES4_DF16_NS_7pk_i4_tEfDF16_DF16_NS_16tensor_operation12element_wise11PassThroughES9_S9_LNS7_6device18GemmSpecializationE0ELi256ELi1ELi128ELi128ELi128ELi64ELi8ELi16ELi16ELi16ELi8ELi2ENS_8SequenceIJLi8ELi32ELi1EEEENSC_IJLi1ELi0ELi2EEEESE_Li2ELi8ELi8ELb0ELi0ENSC_IJLi2ELi128ELi1EEEESE_SE_Li2ELi16ELi16ELb0ELi0ELi1ELi1ENSC_IJLi1ELi16ELi1ELi16EEEELi4ELNS_26BlockGemmPipelineSchedulerE0ELNS_24BlockGemmPipelineVersionE2EDF16_DF16_Lb0ELb1EEELb1ELNS_25InMemoryDataOperationEnumE1ELi2ELNS_10TailNumberE10EEEvNT_8ArgumentE, .Lfunc_end1-_ZN2ck27kernel_gemm_xdl_cshuffle_v3INS_28GridwiseGemm_xdl_cshuffle_v3INS_13tensor_layout4gemm8RowMajorENS3_11ColumnMajorES4_DF16_NS_7pk_i4_tEfDF16_DF16_NS_16tensor_operation12element_wise11PassThroughES9_S9_LNS7_6device18GemmSpecializationE0ELi256ELi1ELi128ELi128ELi128ELi64ELi8ELi16ELi16ELi16ELi8ELi2ENS_8SequenceIJLi8ELi32ELi1EEEENSC_IJLi1ELi0ELi2EEEESE_Li2ELi8ELi8ELb0ELi0ENSC_IJLi2ELi128ELi1EEEESE_SE_Li2ELi16ELi16ELb0ELi0ELi1ELi1ENSC_IJLi1ELi16ELi1ELi16EEEELi4ELNS_26BlockGemmPipelineSchedulerE0ELNS_24BlockGemmPipelineVersionE2EDF16_DF16_Lb0ELb1EEELb1ELNS_25InMemoryDataOperationEnumE1ELi2ELNS_10TailNumberE10EEEvNT_8ArgumentE
                                        ; -- End function
	.section	.AMDGPU.csdata,"",@progbits
; Kernel info:
; codeLenInByte = 7364
; NumSgprs: 40
; NumVgprs: 206
; NumAgprs: 0
; TotalNumVgprs: 206
; ScratchSize: 0
; MemoryBound: 0
; FloatMode: 240
; IeeeMode: 1
; LDSByteSize: 20480 bytes/workgroup (compile time only)
; SGPRBlocks: 4
; VGPRBlocks: 25
; NumSGPRsForWavesPerEU: 40
; NumVGPRsForWavesPerEU: 206
; AccumOffset: 208
; Occupancy: 2
; WaveLimiterHint : 0
; COMPUTE_PGM_RSRC2:SCRATCH_EN: 0
; COMPUTE_PGM_RSRC2:USER_SGPR: 6
; COMPUTE_PGM_RSRC2:TRAP_HANDLER: 0
; COMPUTE_PGM_RSRC2:TGID_X_EN: 1
; COMPUTE_PGM_RSRC2:TGID_Y_EN: 0
; COMPUTE_PGM_RSRC2:TGID_Z_EN: 1
; COMPUTE_PGM_RSRC2:TIDIG_COMP_CNT: 0
; COMPUTE_PGM_RSRC3_GFX90A:ACCUM_OFFSET: 51
; COMPUTE_PGM_RSRC3_GFX90A:TG_SPLIT: 0
	.section	.text._ZN2ck27kernel_gemm_xdl_cshuffle_v3INS_28GridwiseGemm_xdl_cshuffle_v3INS_13tensor_layout4gemm8RowMajorENS3_11ColumnMajorES4_DF16_NS_7pk_i4_tEfDF16_DF16_NS_16tensor_operation12element_wise11PassThroughES9_S9_LNS7_6device18GemmSpecializationE0ELi256ELi1ELi128ELi128ELi128ELi64ELi8ELi16ELi16ELi16ELi8ELi2ENS_8SequenceIJLi8ELi32ELi1EEEENSC_IJLi1ELi0ELi2EEEESE_Li2ELi8ELi8ELb0ELi0ENSC_IJLi2ELi128ELi1EEEESE_SE_Li2ELi16ELi16ELb0ELi0ELi1ELi1ENSC_IJLi1ELi16ELi1ELi16EEEELi4ELNS_26BlockGemmPipelineSchedulerE0ELNS_24BlockGemmPipelineVersionE2EDF16_DF16_Lb0ELb1EEELb1ELNS_25InMemoryDataOperationEnumE0ELi2ELNS_10TailNumberE10EEEvNT_8ArgumentE,"axG",@progbits,_ZN2ck27kernel_gemm_xdl_cshuffle_v3INS_28GridwiseGemm_xdl_cshuffle_v3INS_13tensor_layout4gemm8RowMajorENS3_11ColumnMajorES4_DF16_NS_7pk_i4_tEfDF16_DF16_NS_16tensor_operation12element_wise11PassThroughES9_S9_LNS7_6device18GemmSpecializationE0ELi256ELi1ELi128ELi128ELi128ELi64ELi8ELi16ELi16ELi16ELi8ELi2ENS_8SequenceIJLi8ELi32ELi1EEEENSC_IJLi1ELi0ELi2EEEESE_Li2ELi8ELi8ELb0ELi0ENSC_IJLi2ELi128ELi1EEEESE_SE_Li2ELi16ELi16ELb0ELi0ELi1ELi1ENSC_IJLi1ELi16ELi1ELi16EEEELi4ELNS_26BlockGemmPipelineSchedulerE0ELNS_24BlockGemmPipelineVersionE2EDF16_DF16_Lb0ELb1EEELb1ELNS_25InMemoryDataOperationEnumE0ELi2ELNS_10TailNumberE10EEEvNT_8ArgumentE,comdat
	.protected	_ZN2ck27kernel_gemm_xdl_cshuffle_v3INS_28GridwiseGemm_xdl_cshuffle_v3INS_13tensor_layout4gemm8RowMajorENS3_11ColumnMajorES4_DF16_NS_7pk_i4_tEfDF16_DF16_NS_16tensor_operation12element_wise11PassThroughES9_S9_LNS7_6device18GemmSpecializationE0ELi256ELi1ELi128ELi128ELi128ELi64ELi8ELi16ELi16ELi16ELi8ELi2ENS_8SequenceIJLi8ELi32ELi1EEEENSC_IJLi1ELi0ELi2EEEESE_Li2ELi8ELi8ELb0ELi0ENSC_IJLi2ELi128ELi1EEEESE_SE_Li2ELi16ELi16ELb0ELi0ELi1ELi1ENSC_IJLi1ELi16ELi1ELi16EEEELi4ELNS_26BlockGemmPipelineSchedulerE0ELNS_24BlockGemmPipelineVersionE2EDF16_DF16_Lb0ELb1EEELb1ELNS_25InMemoryDataOperationEnumE0ELi2ELNS_10TailNumberE10EEEvNT_8ArgumentE ; -- Begin function _ZN2ck27kernel_gemm_xdl_cshuffle_v3INS_28GridwiseGemm_xdl_cshuffle_v3INS_13tensor_layout4gemm8RowMajorENS3_11ColumnMajorES4_DF16_NS_7pk_i4_tEfDF16_DF16_NS_16tensor_operation12element_wise11PassThroughES9_S9_LNS7_6device18GemmSpecializationE0ELi256ELi1ELi128ELi128ELi128ELi64ELi8ELi16ELi16ELi16ELi8ELi2ENS_8SequenceIJLi8ELi32ELi1EEEENSC_IJLi1ELi0ELi2EEEESE_Li2ELi8ELi8ELb0ELi0ENSC_IJLi2ELi128ELi1EEEESE_SE_Li2ELi16ELi16ELb0ELi0ELi1ELi1ENSC_IJLi1ELi16ELi1ELi16EEEELi4ELNS_26BlockGemmPipelineSchedulerE0ELNS_24BlockGemmPipelineVersionE2EDF16_DF16_Lb0ELb1EEELb1ELNS_25InMemoryDataOperationEnumE0ELi2ELNS_10TailNumberE10EEEvNT_8ArgumentE
	.globl	_ZN2ck27kernel_gemm_xdl_cshuffle_v3INS_28GridwiseGemm_xdl_cshuffle_v3INS_13tensor_layout4gemm8RowMajorENS3_11ColumnMajorES4_DF16_NS_7pk_i4_tEfDF16_DF16_NS_16tensor_operation12element_wise11PassThroughES9_S9_LNS7_6device18GemmSpecializationE0ELi256ELi1ELi128ELi128ELi128ELi64ELi8ELi16ELi16ELi16ELi8ELi2ENS_8SequenceIJLi8ELi32ELi1EEEENSC_IJLi1ELi0ELi2EEEESE_Li2ELi8ELi8ELb0ELi0ENSC_IJLi2ELi128ELi1EEEESE_SE_Li2ELi16ELi16ELb0ELi0ELi1ELi1ENSC_IJLi1ELi16ELi1ELi16EEEELi4ELNS_26BlockGemmPipelineSchedulerE0ELNS_24BlockGemmPipelineVersionE2EDF16_DF16_Lb0ELb1EEELb1ELNS_25InMemoryDataOperationEnumE0ELi2ELNS_10TailNumberE10EEEvNT_8ArgumentE
	.p2align	8
	.type	_ZN2ck27kernel_gemm_xdl_cshuffle_v3INS_28GridwiseGemm_xdl_cshuffle_v3INS_13tensor_layout4gemm8RowMajorENS3_11ColumnMajorES4_DF16_NS_7pk_i4_tEfDF16_DF16_NS_16tensor_operation12element_wise11PassThroughES9_S9_LNS7_6device18GemmSpecializationE0ELi256ELi1ELi128ELi128ELi128ELi64ELi8ELi16ELi16ELi16ELi8ELi2ENS_8SequenceIJLi8ELi32ELi1EEEENSC_IJLi1ELi0ELi2EEEESE_Li2ELi8ELi8ELb0ELi0ENSC_IJLi2ELi128ELi1EEEESE_SE_Li2ELi16ELi16ELb0ELi0ELi1ELi1ENSC_IJLi1ELi16ELi1ELi16EEEELi4ELNS_26BlockGemmPipelineSchedulerE0ELNS_24BlockGemmPipelineVersionE2EDF16_DF16_Lb0ELb1EEELb1ELNS_25InMemoryDataOperationEnumE0ELi2ELNS_10TailNumberE10EEEvNT_8ArgumentE,@function
_ZN2ck27kernel_gemm_xdl_cshuffle_v3INS_28GridwiseGemm_xdl_cshuffle_v3INS_13tensor_layout4gemm8RowMajorENS3_11ColumnMajorES4_DF16_NS_7pk_i4_tEfDF16_DF16_NS_16tensor_operation12element_wise11PassThroughES9_S9_LNS7_6device18GemmSpecializationE0ELi256ELi1ELi128ELi128ELi128ELi64ELi8ELi16ELi16ELi16ELi8ELi2ENS_8SequenceIJLi8ELi32ELi1EEEENSC_IJLi1ELi0ELi2EEEESE_Li2ELi8ELi8ELb0ELi0ENSC_IJLi2ELi128ELi1EEEESE_SE_Li2ELi16ELi16ELb0ELi0ELi1ELi1ENSC_IJLi1ELi16ELi1ELi16EEEELi4ELNS_26BlockGemmPipelineSchedulerE0ELNS_24BlockGemmPipelineVersionE2EDF16_DF16_Lb0ELb1EEELb1ELNS_25InMemoryDataOperationEnumE0ELi2ELNS_10TailNumberE10EEEvNT_8ArgumentE: ; @_ZN2ck27kernel_gemm_xdl_cshuffle_v3INS_28GridwiseGemm_xdl_cshuffle_v3INS_13tensor_layout4gemm8RowMajorENS3_11ColumnMajorES4_DF16_NS_7pk_i4_tEfDF16_DF16_NS_16tensor_operation12element_wise11PassThroughES9_S9_LNS7_6device18GemmSpecializationE0ELi256ELi1ELi128ELi128ELi128ELi64ELi8ELi16ELi16ELi16ELi8ELi2ENS_8SequenceIJLi8ELi32ELi1EEEENSC_IJLi1ELi0ELi2EEEESE_Li2ELi8ELi8ELb0ELi0ENSC_IJLi2ELi128ELi1EEEESE_SE_Li2ELi16ELi16ELb0ELi0ELi1ELi1ENSC_IJLi1ELi16ELi1ELi16EEEELi4ELNS_26BlockGemmPipelineSchedulerE0ELNS_24BlockGemmPipelineVersionE2EDF16_DF16_Lb0ELb1EEELb1ELNS_25InMemoryDataOperationEnumE0ELi2ELNS_10TailNumberE10EEEvNT_8ArgumentE
; %bb.0:
	s_load_dword s0, s[4:5], 0x70
	s_load_dwordx8 s[8:15], s[4:5], 0x10
	s_mov_b64 s[24:25], 0
	s_waitcnt lgkmcnt(0)
	s_lshr_b32 s2, s0, 24
	s_cmp_gt_i32 s15, 1
	s_cselect_b64 s[0:1], -1, 0
	s_bitcmp1_b32 s2, 0
	s_cselect_b64 s[2:3], -1, 0
	s_and_b64 s[0:1], s[0:1], s[2:3]
	s_andn2_b64 vcc, exec, s[0:1]
	s_cbranch_vccnz .LBB2_2
; %bb.1:
	s_mul_i32 s0, s8, s7
	s_mul_i32 s24, s0, s9
	s_ashr_i32 s25, s24, 31
.LBB2_2:
	s_load_dword s3, s[4:5], 0x38
	s_load_dword s2, s[4:5], 0x40
	s_load_dwordx8 s[16:23], s[4:5], 0x50
	s_add_i32 s0, s8, -1
	s_mov_b32 s27, 0
	s_cmpk_lt_u32 s0, 0x80
	s_movk_i32 s28, 0x80
	s_cbranch_scc1 .LBB2_6
; %bb.3:
	s_add_i32 s0, s9, -1
	s_cmpk_lt_u32 s0, 0x80
	s_mov_b32 s0, 0
	s_cbranch_scc1 .LBB2_10
; %bb.4:
	s_add_i32 s0, s8, 0x7f
	s_ashr_i32 s1, s0, 31
	s_lshr_b32 s1, s1, 25
	s_add_i32 s0, s0, s1
	s_ashr_i32 s5, s0, 7
	s_add_i32 s0, s9, 0x7f
	s_ashr_i32 s1, s0, 31
	s_lshr_b32 s1, s1, 25
	s_add_i32 s0, s0, s1
	s_ashr_i32 s4, s0, 7
	s_mul_i32 s0, s4, s5
	s_add_i32 s1, s0, 7
	s_ashr_i32 s26, s1, 31
	s_lshr_b32 s26, s26, 29
	s_add_i32 s1, s1, s26
	s_ashr_i32 s26, s1, 3
	s_and_b32 s1, s1, -8
	s_sub_i32 s29, s0, s1
	s_ashr_i32 s0, s6, 31
	s_lshr_b32 s0, s0, 29
	s_add_i32 s31, s6, s0
	s_and_b32 s0, s31, -8
	s_add_i32 s29, s29, 8
	s_sub_i32 s30, s6, s0
	s_cmp_gt_i32 s30, s29
	s_cbranch_scc1 .LBB2_7
; %bb.5:
	s_mul_i32 s6, s26, s30
	s_ashr_i32 s0, s31, 3
	s_cbranch_execz .LBB2_8
	s_branch .LBB2_9
.LBB2_6:
	s_mov_b32 s26, 0
	s_branch .LBB2_11
.LBB2_7:
                                        ; implicit-def: $sgpr6
	s_ashr_i32 s0, s31, 3
.LBB2_8:
	s_add_i32 s1, s26, -1
	s_mul_i32 s1, s1, s30
	s_add_i32 s6, s29, s1
.LBB2_9:
	s_abs_i32 s1, s4
	v_cvt_f32_u32_e32 v1, s1
	s_sub_i32 s29, 0, s1
	s_add_i32 s0, s6, s0
	s_abs_i32 s26, s0
	v_rcp_iflag_f32_e32 v1, v1
	s_xor_b32 s6, s0, s4
	s_ashr_i32 s6, s6, 31
	v_mul_f32_e32 v1, 0x4f7ffffe, v1
	v_cvt_u32_f32_e32 v1, v1
	v_readfirstlane_b32 s30, v1
	s_mul_i32 s29, s29, s30
	s_mul_hi_u32 s29, s30, s29
	s_add_i32 s30, s30, s29
	s_mul_hi_u32 s29, s26, s30
	s_mul_i32 s30, s29, s1
	s_sub_i32 s26, s26, s30
	s_add_i32 s31, s29, 1
	s_sub_i32 s30, s26, s1
	s_cmp_ge_u32 s26, s1
	s_cselect_b32 s29, s31, s29
	s_cselect_b32 s26, s30, s26
	s_add_i32 s30, s29, 1
	s_cmp_ge_u32 s26, s1
	s_cselect_b32 s1, s30, s29
	s_xor_b32 s1, s1, s6
	s_lshr_b32 s26, s5, 30
	s_sub_i32 s1, s1, s6
	s_add_i32 s26, s5, s26
	s_mul_i32 s6, s1, s4
	s_sub_i32 s0, s0, s6
	s_and_b32 s6, s26, -4
	s_sub_i32 s5, s5, s6
	s_cmp_ge_i32 s1, s6
	s_cselect_b32 s5, s5, 4
	s_abs_i32 s26, s5
	v_cvt_f32_u32_e32 v1, s26
	s_ashr_i32 s6, s1, 31
	s_lshr_b32 s6, s6, 30
	s_add_i32 s6, s1, s6
	v_rcp_iflag_f32_e32 v1, v1
	s_and_b32 s6, s6, -4
	s_sub_i32 s6, s1, s6
	s_sub_i32 s30, 0, s26
	v_mul_f32_e32 v1, 0x4f7ffffe, v1
	v_cvt_u32_f32_e32 v1, v1
	s_mul_i32 s4, s6, s4
	s_add_i32 s4, s4, s0
	s_abs_i32 s29, s4
	v_readfirstlane_b32 s31, v1
	s_mul_i32 s30, s30, s31
	s_mul_hi_u32 s30, s31, s30
	s_add_i32 s31, s31, s30
	s_mul_hi_u32 s30, s29, s31
	s_mul_i32 s31, s30, s26
	s_xor_b32 s0, s4, s5
	s_sub_i32 s29, s29, s31
	s_ashr_i32 s0, s0, 31
	s_add_i32 s31, s30, 1
	s_sub_i32 s33, s29, s26
	s_cmp_ge_u32 s29, s26
	s_cselect_b32 s30, s31, s30
	s_cselect_b32 s29, s33, s29
	s_add_i32 s31, s30, 1
	s_cmp_ge_u32 s29, s26
	s_cselect_b32 s26, s31, s30
	s_xor_b32 s26, s26, s0
	s_sub_i32 s0, s26, s0
	s_mul_i32 s5, s0, s5
	s_sub_i32 s4, s4, s5
	s_add_i32 s4, s4, s1
	s_sub_i32 s6, s4, s6
.LBB2_10:
	s_mov_b32 s26, s6
	s_mov_b32 s6, s0
.LBB2_11:
	s_waitcnt lgkmcnt(0)
	s_mul_i32 s0, s3, s7
	s_mul_i32 s1, s0, s9
	s_lshr_b32 s4, s1, 31
	s_add_i32 s1, s1, s4
	s_ashr_i32 s4, s1, 1
	s_ashr_i32 s1, s3, 31
	s_lshr_b32 s1, s1, 25
	s_add_i32 s1, s3, s1
	s_ashr_i32 s1, s1, 7
	s_mul_i32 s30, s1, s7
	s_add_i32 s1, s15, -1
	s_mul_i32 s5, s1, s3
	s_sub_i32 s5, s10, s5
	s_cmp_gt_i32 s1, s7
	s_cselect_b32 s3, s3, s5
	s_ashr_i32 s1, s0, 31
	s_lshl_b64 s[0:1], s[0:1], 1
	s_add_u32 s0, s16, s0
	s_addc_u32 s1, s17, s1
	s_ashr_i32 s5, s4, 31
	s_add_u32 s4, s18, s4
	s_addc_u32 s5, s19, s5
	s_ashr_i32 s31, s30, 31
	s_lshl_b64 s[16:17], s[30:31], 1
	s_add_u32 s16, s22, s16
	s_addc_u32 s17, s23, s17
	s_add_u32 s10, 0, 0
	s_addc_u32 s15, s8, -1
	s_ashr_i32 s18, s12, 31
	s_lshr_b32 s18, s18, 26
	s_add_i32 s12, s12, s18
	s_ashr_i32 s12, s12, 6
	s_mul_i32 s18, s9, s12
	s_add_i32 s12, s3, 0x7f
	s_ashr_i32 s19, s12, 31
	v_lshrrev_b32_e32 v90, 1, v0
	s_lshr_b32 s19, s19, 25
	s_lshl_b32 s23, s26, 7
	v_and_b32_e32 v26, 7, v0
	v_and_b32_e32 v1, 0x7c, v90
	;; [unrolled: 1-line block ×3, first 2 shown]
	s_add_i32 s12, s12, s19
	s_add_i32 s19, s9, -1
	v_add_u32_e32 v5, s23, v1
	v_xor_b32_e32 v91, v27, v26
	v_lshlrev_b32_e32 v1, 6, v1
	s_ashr_i32 s12, s12, 7
	s_mul_i32 s19, s14, s19
	v_lshl_or_b32 v28, v91, 3, v1
	v_lshlrev_b32_e32 v1, 1, v0
	s_add_i32 s19, s12, s19
	s_lshl_b32 s12, s6, 7
	v_and_b32_e32 v29, 2, v1
	v_add_u32_e32 v1, s12, v90
	v_lshlrev_b32_e32 v6, 4, v29
	v_lshl_or_b32 v24, v1, 6, v6
	v_bfe_u32 v6, v0, 1, 2
	v_lshrrev_b32_e32 v1, 3, v0
	v_lshl_or_b32 v30, v29, 2, v6
	v_bfe_u32 v31, v0, 3, 4
	v_xor_b32_e32 v32, v30, v31
	v_lshlrev_b32_e32 v1, 8, v1
	v_lshl_or_b32 v33, v32, 4, v1
	v_and_b32_e32 v1, 63, v0
	v_and_b32_e32 v6, 48, v0
	v_sub_u32_e32 v34, v1, v6
	v_lshrrev_b16_e32 v1, 12, v34
	v_and_b32_e32 v1, 7, v1
	v_add_u16_e32 v1, v34, v1
	v_and_b32_e32 v1, 0xf8, v1
	v_sub_u16_e32 v36, v34, v1
	v_lshrrev_b32_e32 v1, 2, v0
	v_and_b32_e32 v1, 48, v1
	v_lshrrev_b32_e32 v35, 3, v6
	v_add_u32_e32 v86, v34, v1
	v_lshrrev_b32_e32 v87, 2, v6
	v_mov_b32_e32 v6, 13
	v_lshrrev_b16_sdwa v6, v6, sext(v86) dst_sel:DWORD dst_unused:UNUSED_PAD src0_sel:DWORD src1_sel:BYTE_0
	v_and_b32_e32 v6, 3, v6
	v_add_u16_e32 v6, v86, v6
	v_mov_b32_e32 v167, 2
	v_mov_b32_e32 v9, 11
	v_ashrrev_i16_sdwa v7, v167, sext(v6) dst_sel:DWORD dst_unused:UNUSED_PAD src0_sel:DWORD src1_sel:BYTE_0
	v_and_b32_e32 v8, 0xfc, v6
	v_lshrrev_b16_sdwa v6, v9, sext(v6) dst_sel:DWORD dst_unused:UNUSED_PAD src0_sel:DWORD src1_sel:BYTE_0
	v_and_b32_e32 v6, 15, v6
	v_add_u16_e32 v6, v7, v6
	v_sub_u16_e32 v8, v86, v8
	v_and_b32_e32 v6, -16, v6
	s_ashr_i32 s6, s2, 31
	v_add_u32_sdwa v8, v87, sext(v8) dst_sel:DWORD dst_unused:UNUSED_PAD src0_sel:DWORD src1_sel:BYTE_0
	v_sub_u16_e32 v6, v7, v6
	s_lshr_b32 s6, s6, 29
	v_and_or_b32 v1, v0, 15, v1
	v_lshlrev_b32_e32 v4, 3, v26
	v_mul_lo_u32 v3, v5, s11
	v_xor_b32_sdwa v88, v8, sext(v6) dst_sel:DWORD dst_unused:UNUSED_PAD src0_sel:DWORD src1_sel:WORD_0
	s_add_i32 s2, s2, s6
	v_or_b32_e32 v6, s12, v1
	s_mul_i32 s7, s15, s11
	s_lshl_b32 s22, s9, 6
	v_add_u32_e32 v2, v3, v4
	v_mov_b32_e32 v166, 2
	v_xor_b32_sdwa v37, v35, sext(v36) dst_sel:DWORD dst_unused:UNUSED_PAD src0_sel:DWORD src1_sel:BYTE_0
	v_lshlrev_b32_e32 v89, 4, v88
	v_lshlrev_b32_e32 v92, 8, v7
	s_ashr_i32 s30, s2, 3
	v_mul_lo_u32 v168, v6, s14
	; sched_barrier mask(0x00000000)
	v_lshlrev_b32_e32 v93, 1, v2
	v_add_u32_e32 v2, s11, v2
	s_add_i32 s3, s3, s7
	v_lshlrev_b32_e32 v14, 1, v2
	v_add_u32_e32 v2, s11, v2
	s_lshl_b32 s2, s3, 1
	s_mov_b32 s3, 0x20000
	v_lshlrev_b32_e32 v25, 1, v2
	v_add_u32_e32 v2, s11, v2
	buffer_load_dwordx4 v[6:9], v93, s[0:3], 0 offen
	buffer_load_dwordx4 v[10:13], v14, s[0:3], 0 offen
	v_ashrrev_i32_e32 v14, 1, v24
	s_lshl_b32 s6, s18, 5
	s_mov_b32 s7, s3
	v_lshlrev_b32_e32 v38, 1, v2
	buffer_load_dwordx2 v[22:23], v14, s[4:7], 0 offen
	s_nop 0
	buffer_load_dwordx4 v[14:17], v25, s[0:3], 0 offen
	buffer_load_dwordx4 v[18:21], v38, s[0:3], 0 offen
	v_or_b32_e32 v38, 1, v29
	v_sub_u32_e32 v25, v38, v29
	v_lshlrev_b32_e32 v39, 4, v25
	v_add_u32_e32 v40, v24, v39
	v_ashrrev_i32_e32 v24, 1, v40
	buffer_load_dwordx2 v[24:25], v24, s[4:7], 0 offen
	s_lshl_b32 s18, s19, 1
	v_lshlrev_b32_e32 v41, 1, v168
	s_lshl_b32 s14, s14, 7
	s_mov_b32 s19, s3
	v_sub_u32_e32 v29, v29, v38
	v_add_u32_e32 v38, s14, v41
	buffer_load_ushort v95, v41, s[16:19], 0 offen
	buffer_load_ushort v96, v38, s[16:19], 0 offen
	v_or_b32_e32 v30, 4, v30
	v_xor_b32_e32 v30, v30, v31
	v_or_b32_e32 v43, 1, v27
	v_lshl_add_u32 v29, v29, 4, s22
	v_sub_u32_e32 v30, v30, v32
	v_lshrrev_b32_e32 v169, 1, v33
	v_xor_b32_e32 v43, v43, v26
	v_lshl_add_u32 v30, v30, 4, v33
	v_add_u32_e32 v33, v40, v29
	v_lshlrev_b32_e32 v42, 1, v28
	v_or_b32_e32 v44, 2, v27
	v_sub_u32_e32 v31, v43, v91
	v_ashrrev_i32_e32 v40, 1, v33
	v_add_u32_e32 v33, v33, v39
	v_or_b32_e32 v27, 3, v27
	v_xor_b32_e32 v94, v44, v26
	v_lshlrev_b32_e32 v170, 3, v31
	v_lshl_add_u32 v31, v31, 4, v42
	v_ashrrev_i32_e32 v39, 1, v33
	buffer_load_dwordx2 v[154:155], v40, s[4:7], 0 offen
	buffer_load_dwordx2 v[156:157], v39, s[4:7], 0 offen
	v_xor_b32_e32 v27, v27, v26
	v_sub_u32_e32 v38, v94, v43
	s_mul_i32 s23, s11, -3
	v_sub_u32_e32 v41, v27, v94
	v_lshlrev_b32_e32 v32, 4, v38
	v_add3_u32 v2, s23, 64, v2
	v_lshlrev_b32_e32 v171, 3, v38
	v_lshlrev_b32_e32 v38, 4, v41
	v_add3_u32 v32, v31, s28, v32
	v_and_b32_e32 v44, 0x7ff8, v169
	v_add3_u32 v38, v32, s28, v38
	v_ashrrev_i32_e32 v175, 1, v30
	v_and_b32_e32 v97, v89, v92
	v_xor_b32_e32 v92, v89, v92
	v_ashrrev_i16_e32 v92, 1, v92
	v_add_u16_e32 v92, v97, v92
	v_add_u32_e32 v86, 64, v86
	v_add_u32_e32 v172, 64, v171
	;; [unrolled: 1-line block ×3, first 2 shown]
	v_bfe_i32 v185, v92, 0, 16
	v_lshrrev_b32_e32 v92, 2, v86
	v_and_or_b32 v87, v0, 3, v87
	v_bfe_u32 v86, v86, 2, 4
	v_sub_u32_e32 v27, v91, v27
	v_add3_u32 v28, v173, v28, v172
	v_xor_b32_e32 v86, v86, v87
	s_movk_i32 s29, 0xff80
	v_lshlrev_b32_e32 v27, 3, v27
	v_lshl_add_u32 v28, v41, 3, v28
	v_sub_u32_e32 v86, v86, v88
	v_add3_u32 v174, v28, v27, s29
	v_add_u32_e32 v176, v33, v29
	v_lshlrev_b32_e32 v88, 4, v86
	s_waitcnt vmcnt(9)
	ds_write_b128 v42, v[6:9]
	s_waitcnt vmcnt(8)
	ds_write_b128 v31, v[10:13] offset:128
	v_lshlrev_b32_e32 v92, 8, v92
	v_add3_u32 v88, v89, v92, v88
	v_ashrrev_i32_e32 v186, 1, v88
	s_mov_b32 s23, 0xe408
	s_waitcnt vmcnt(7)
	v_and_b32_e32 v6, 0xff000000, v23
	v_and_b32_e32 v7, 0xff0000, v23
	;; [unrolled: 1-line block ×4, first 2 shown]
	v_or_b32_e32 v6, v7, v6
	v_or3_b32 v23, v6, v8, v9
	s_waitcnt vmcnt(6)
	ds_write_b128 v32, v[14:17] offset:128
	s_waitcnt vmcnt(4)
	v_and_b32_e32 v6, 0xff000000, v25
	v_and_b32_e32 v7, 0xff0000, v25
	;; [unrolled: 1-line block ×3, first 2 shown]
	v_or_b32_e32 v6, v7, v6
	v_and_b32_e32 v7, 0xff, v25
	v_or3_b32 v25, v6, v8, v7
	v_lshlrev_b32_e32 v6, 1, v2
	v_add_u32_e32 v2, s11, v2
	ds_write_b128 v38, v[18:21] offset:128
	ds_write_b64 v44, v[22:23] offset:16384
	ds_write_b64 v175, v[24:25] offset:16384
	v_lshlrev_b32_e32 v7, 1, v2
	v_add_u32_e32 v2, s11, v2
	buffer_load_dwordx4 v[42:45], v6, s[0:3], 0 offen
	buffer_load_dwordx4 v[46:49], v7, s[0:3], 0 offen
	v_lshlrev_b32_e32 v6, 1, v2
	v_add_lshl_u32 v2, v2, s11, 1
	buffer_load_dwordx4 v[50:53], v6, s[0:3], 0 offen
	buffer_load_dwordx4 v[54:57], v2, s[0:3], 0 offen
	v_or_b32_e32 v7, 1, v35
	v_lshlrev_b32_e32 v6, 7, v34
	v_xor_b32_sdwa v8, v7, sext(v36) dst_sel:DWORD dst_unused:UNUSED_PAD src0_sel:DWORD src1_sel:BYTE_0
	v_lshl_add_u32 v177, v37, 4, v6
	v_lshl_add_u32 v178, v8, 4, v6
	v_add_u16_e32 v6, 16, v34
	v_mov_b32_e32 v8, 12
	v_lshrrev_b16_sdwa v8, v8, sext(v6) dst_sel:DWORD dst_unused:UNUSED_PAD src0_sel:DWORD src1_sel:BYTE_0
	v_and_b32_e32 v8, 7, v8
	v_add_u16_e32 v8, v6, v8
	v_and_b32_e32 v8, 0xf8, v8
	v_sub_u16_e32 v6, v6, v8
	v_xor_b32_sdwa v8, v35, sext(v6) dst_sel:DWORD dst_unused:UNUSED_PAD src0_sel:DWORD src1_sel:BYTE_0
	v_xor_b32_sdwa v6, v7, sext(v6) dst_sel:DWORD dst_unused:UNUSED_PAD src0_sel:DWORD src1_sel:BYTE_0
	v_sub_u32_e32 v6, v6, v37
	v_sub_u32_e32 v8, v8, v37
	v_lshlrev_b32_e32 v6, 4, v6
	v_lshlrev_b32_e32 v8, 4, v8
	v_add_u32_e32 v180, v177, v6
	v_add_u16_e32 v6, 32, v34
	v_add_u32_e32 v179, v177, v8
	v_lshrrev_b16_e32 v8, 13, v6
	v_add_u16_e32 v8, v6, v8
	v_and_b32_e32 v8, -8, v8
	v_sub_u16_e32 v6, v6, v8
	v_xor_b32_sdwa v8, v35, sext(v6) dst_sel:DWORD dst_unused:UNUSED_PAD src0_sel:DWORD src1_sel:WORD_0
	v_xor_b32_sdwa v6, v7, sext(v6) dst_sel:DWORD dst_unused:UNUSED_PAD src0_sel:DWORD src1_sel:WORD_0
	v_sub_u32_e32 v6, v6, v37
	v_lshlrev_b32_e32 v6, 4, v6
	v_add_u32_e32 v182, v177, v6
	v_xor_b32_e32 v6, v35, v26
	v_sub_u32_e32 v8, v8, v37
	v_sub_u32_e32 v6, v6, v37
	v_lshlrev_b32_e32 v8, 4, v8
	v_lshl_add_u32 v183, v6, 4, v177
	v_xor_b32_e32 v6, v7, v26
	v_add_u32_e32 v181, v177, v8
	v_sub_u32_e32 v6, v6, v37
	s_waitcnt lgkmcnt(0)
	s_barrier
	ds_read_b128 v[82:85], v177
	ds_read_b128 v[78:81], v178
	ds_read_b128 v[74:77], v179 offset:2048
	ds_read_b128 v[70:73], v180 offset:2048
	;; [unrolled: 1-line block ×4, first 2 shown]
	v_lshl_add_u32 v184, v6, 4, v177
	ds_read_b128 v[34:37], v183 offset:6144
	ds_read_b128 v[30:33], v183 offset:8192
	;; [unrolled: 1-line block ×10, first 2 shown]
	ds_read_b64 v[86:87], v185 offset:16384
	ds_read_b64 v[88:89], v186 offset:16384
	s_movk_i32 s29, 0x2c00
	v_mov_b32_e32 v187, 0xd480
	v_mov_b32_e32 v2, 0
	s_waitcnt lgkmcnt(1)
	v_and_b32_e32 v92, 0xf000f, v86
	v_or_b32_e32 v92, 0x64006400, v92
	v_and_b32_e32 v97, 0xf000f0, v86
	v_pk_add_f16 v92, v92, s23 op_sel_hi:[1,0]
	v_ashrrev_i32_e32 v86, 8, v86
	s_waitcnt vmcnt(7)
	v_pk_mul_f16 v146, v95, v92 op_sel_hi:[0,1]
	v_and_b32_e32 v92, 0xf000f, v86
	v_and_b32_e32 v86, 0xf000f0, v86
	v_or_b32_e32 v86, 0x64006400, v86
	v_pk_fma_f16 v86, v86, s29, v187 op_sel_hi:[1,0,0]
	v_pk_mul_f16 v149, v95, v86 op_sel_hi:[0,1]
	v_and_b32_e32 v86, 0xf000f, v87
	v_or_b32_e32 v86, 0x64006400, v86
	v_or_b32_e32 v92, 0x64006400, v92
	v_pk_add_f16 v86, v86, s23 op_sel_hi:[1,0]
	v_pk_add_f16 v92, v92, s23 op_sel_hi:[1,0]
	v_pk_mul_f16 v150, v95, v86 op_sel_hi:[0,1]
	v_ashrrev_i32_e32 v86, 8, v87
	v_pk_mul_f16 v148, v95, v92 op_sel_hi:[0,1]
	v_and_b32_e32 v92, 0xf000f0, v87
	v_and_b32_e32 v87, 0xf000f, v86
	;; [unrolled: 1-line block ×3, first 2 shown]
	v_or_b32_e32 v86, 0x64006400, v86
	v_or_b32_e32 v87, 0x64006400, v87
	v_pk_fma_f16 v86, v86, s29, v187 op_sel_hi:[1,0,0]
	v_pk_add_f16 v87, v87, s23 op_sel_hi:[1,0]
	v_pk_mul_f16 v153, v95, v86 op_sel_hi:[0,1]
	s_waitcnt lgkmcnt(0)
	v_and_b32_e32 v86, 0xf000f, v88
	v_pk_mul_f16 v152, v95, v87 op_sel_hi:[0,1]
	v_or_b32_e32 v86, 0x64006400, v86
	v_and_b32_e32 v87, 0xf000f0, v88
	v_or_b32_e32 v87, 0x64006400, v87
	v_pk_add_f16 v86, v86, s23 op_sel_hi:[1,0]
	v_pk_fma_f16 v87, v87, s29, v187 op_sel_hi:[1,0,0]
	s_waitcnt vmcnt(6)
	v_pk_mul_f16 v162, v96, v86 op_sel_hi:[0,1]
	v_ashrrev_i32_e32 v86, 8, v88
	v_pk_mul_f16 v163, v96, v87 op_sel_hi:[0,1]
	v_and_b32_e32 v87, 0xf000f, v86
	v_and_b32_e32 v86, 0xf000f0, v86
	v_or_b32_e32 v86, 0x64006400, v86
	v_or_b32_e32 v87, 0x64006400, v87
	v_pk_fma_f16 v86, v86, s29, v187 op_sel_hi:[1,0,0]
	v_pk_add_f16 v87, v87, s23 op_sel_hi:[1,0]
	v_pk_mul_f16 v165, v96, v86 op_sel_hi:[0,1]
	v_and_b32_e32 v86, 0xf000f, v89
	v_pk_mul_f16 v164, v96, v87 op_sel_hi:[0,1]
	v_or_b32_e32 v86, 0x64006400, v86
	v_and_b32_e32 v87, 0xf000f0, v89
	v_or_b32_e32 v87, 0x64006400, v87
	v_pk_add_f16 v86, v86, s23 op_sel_hi:[1,0]
	v_pk_fma_f16 v87, v87, s29, v187 op_sel_hi:[1,0,0]
	v_pk_mul_f16 v160, v96, v86 op_sel_hi:[0,1]
	v_ashrrev_i32_e32 v86, 8, v89
	v_pk_mul_f16 v161, v96, v87 op_sel_hi:[0,1]
	v_and_b32_e32 v87, 0xf000f, v86
	v_and_b32_e32 v86, 0xf000f0, v86
	v_or_b32_e32 v97, 0x64006400, v97
	v_or_b32_e32 v92, 0x64006400, v92
	;; [unrolled: 1-line block ×4, first 2 shown]
	v_pk_fma_f16 v97, v97, s29, v187 op_sel_hi:[1,0,0]
	v_pk_fma_f16 v92, v92, s29, v187 op_sel_hi:[1,0,0]
	v_pk_add_f16 v87, v87, s23 op_sel_hi:[1,0]
	v_pk_fma_f16 v86, v86, s29, v187 op_sel_hi:[1,0,0]
	v_pk_mul_f16 v147, v95, v97 op_sel_hi:[0,1]
	v_pk_mul_f16 v151, v95, v92 op_sel_hi:[0,1]
	;; [unrolled: 1-line block ×4, first 2 shown]
	; sched_barrier mask(0x00000000)
	v_or_b32_e32 v86, 3, v90
	v_xor_b32_e32 v86, v86, v0
	v_and_b32_e32 v86, 7, v86
	v_sub_u32_e32 v87, v86, v94
	v_lshlrev_b32_e32 v188, 3, v87
	v_sub_u32_e32 v86, v91, v86
	v_mov_b32_e32 v87, 0xffffff40
	v_lshl_add_u32 v190, v86, 3, v87
	v_add_u32_e32 v86, 3, v5
	v_mad_u64_u32 v[86:87], s[34:35], s11, v86, v[4:5]
	v_mov_b32_e32 v88, 0x100
	v_add_u32_e32 v5, 2, v5
	s_add_i32 s30, s30, -1
	v_lshl_add_u32 v191, v86, 1, v88
	v_mad_u64_u32 v[86:87], s[34:35], s11, v5, v[4:5]
	v_add3_u32 v3, v3, s11, v4
	s_max_i32 s30, s30, 1
	v_add_u32_e32 v189, 64, v188
	v_lshl_add_u32 v192, v86, 1, v88
	v_lshl_add_u32 v193, v3, 1, v88
	v_add_u32_e32 v194, 0x100, v93
	s_movk_i32 s11, 0x90
	v_mov_b32_e32 v195, 2
	v_mov_b32_e32 v3, v2
	;; [unrolled: 1-line block ×64, first 2 shown]
.LBB2_12:                               ; =>This Inner Loop Header: Depth=1
	v_lshlrev_b32_e32 v196, 1, v174
	s_waitcnt lgkmcnt(0)
	s_barrier
	s_waitcnt vmcnt(3)
	ds_write_b128 v196, v[42:45]
	v_mfma_f32_16x16x16f16 v[2:5], v[10:11], v[162:163], v[2:5]
	buffer_load_dwordx4 v[42:45], v194, s[0:3], 0 offen
	v_lshl_add_u32 v196, v170, 1, v196
	s_andn2_b32 s31, 1, s27
	; sched_group_barrier mask(0x00000200) size(1) SyncID(0)
	; sched_group_barrier mask(0x00000008) size(1) SyncID(0)
	;; [unrolled: 1-line block ×3, first 2 shown]
	v_mfma_f32_16x16x16f16 v[142:145], v[82:83], v[146:147], v[142:145]
	v_mfma_f32_16x16x16f16 v[138:141], v[82:83], v[162:163], v[138:141]
	;; [unrolled: 1-line block ×6, first 2 shown]
	s_waitcnt vmcnt(3)
	ds_write_b128 v196, v[46:49] offset:128
	; sched_group_barrier mask(0x00000008) size(6) SyncID(0)
	; sched_group_barrier mask(0x00000200) size(1) SyncID(0)
	v_mfma_f32_16x16x16f16 v[138:141], v[78:79], v[150:151], v[142:145]
	buffer_load_dwordx4 v[46:49], v193, s[0:3], 0 offen
	; sched_group_barrier mask(0x00000008) size(1) SyncID(0)
	; sched_group_barrier mask(0x00000020) size(1) SyncID(0)
	v_mfma_f32_16x16x16f16 v[82:85], v[78:79], v[160:161], v[82:85]
	v_mfma_f32_16x16x16f16 v[142:145], v[80:81], v[152:153], v[138:141]
	v_mfma_f32_16x16x16f16 v[138:141], v[80:81], v[158:159], v[82:85]
	v_mfma_f32_16x16x16f16 v[78:81], v[74:75], v[146:147], v[134:137]
	v_mfma_f32_16x16x16f16 v[2:5], v[8:9], v[158:159], v[2:5]
	v_mfma_f32_16x16x16f16 v[82:85], v[74:75], v[162:163], v[130:133]
	; sched_group_barrier mask(0x00000008) size(6) SyncID(0)
	v_mfma_f32_16x16x16f16 v[78:81], v[76:77], v[148:149], v[78:81]
	v_mfma_f32_16x16x16f16 v[78:81], v[70:71], v[150:151], v[78:81]
	;; [unrolled: 1-line block ×4, first 2 shown]
	s_nop 7
	s_nop 0
	v_lshlrev_b32_e32 v78, 1, v171
	v_add3_u32 v196, v196, s28, v78
	v_mfma_f32_16x16x16f16 v[74:77], v[70:71], v[160:161], v[74:77]
	v_mfma_f32_16x16x16f16 v[78:81], v[66:67], v[146:147], v[122:125]
	;; [unrolled: 1-line block ×3, first 2 shown]
	s_waitcnt vmcnt(3)
	ds_write_b128 v196, v[50:53] offset:128
	v_lshlrev_b32_e32 v66, 1, v188
	v_add3_u32 v66, v196, s28, v66
	v_mfma_f32_16x16x16f16 v[130:133], v[72:73], v[158:159], v[74:77]
	v_mfma_f32_16x16x16f16 v[70:73], v[68:69], v[148:149], v[78:81]
	v_mfma_f32_16x16x16f16 v[70:73], v[62:63], v[150:151], v[70:73]
	v_mfma_f32_16x16x16f16 v[122:125], v[64:65], v[152:153], v[70:73]
	v_mfma_f32_16x16x16f16 v[70:73], v[34:35], v[146:147], v[114:117]
	v_mfma_f32_16x16x16f16 v[70:73], v[36:37], v[148:149], v[70:73]
	s_waitcnt vmcnt(2)
	ds_write_b128 v66, v[54:57] offset:128
	v_mfma_f32_16x16x16f16 v[66:69], v[68:69], v[164:165], v[82:85]
	v_mfma_f32_16x16x16f16 v[66:69], v[62:63], v[160:161], v[66:69]
	;; [unrolled: 1-line block ×5, first 2 shown]
	s_nop 7
	s_nop 1
	v_and_b32_e32 v62, 0xff000000, v155
	v_and_b32_e32 v63, 0xff0000, v155
	;; [unrolled: 1-line block ×4, first 2 shown]
	v_or_b32_e32 v62, v63, v62
	v_or3_b32 v155, v62, v64, v65
	v_mfma_f32_16x16x16f16 v[62:65], v[34:35], v[162:163], v[110:113]
	v_lshrrev_b32_e32 v34, 31, v176
	v_add_u32_e32 v34, v176, v34
	v_ashrrev_i32_e32 v34, 1, v34
	ds_write_b64 v169, v[154:155] offset:16384
	buffer_load_dwordx2 v[154:155], v34, s[4:7], 0 offen
	v_mfma_f32_16x16x16f16 v[34:37], v[36:37], v[164:165], v[62:65]
	v_mfma_f32_16x16x16f16 v[34:37], v[38:39], v[160:161], v[34:37]
	v_and_b32_e32 v39, 0xff000000, v157
	v_lshlrev_b32_e32 v38, 6, v167
	v_mfma_f32_16x16x16f16 v[110:113], v[40:41], v[158:159], v[34:37]
	s_nop 7
	v_and_b32_e32 v34, 0xff0000, v157
	v_and_b32_e32 v35, 0xff00, v157
	;; [unrolled: 1-line block ×3, first 2 shown]
	v_sub_u32_e32 v37, v166, v195
	v_or_b32_e32 v34, v34, v39
	v_or3_b32 v157, v34, v35, v36
	v_sub_u32_e32 v34, s11, v38
	v_mul_lo_u32 v35, s22, v37
	v_add3_u32 v34, v176, v35, v34
	v_lshrrev_b32_e32 v35, 31, v34
	v_add_u32_e32 v34, v34, v35
	v_ashrrev_i32_e32 v34, 1, v34
	ds_write_b64 v175, v[156:157] offset:16384
	buffer_load_dwordx2 v[156:157], v34, s[4:7], 0 offen
	buffer_load_dwordx4 v[50:53], v192, s[0:3], 0 offen
	buffer_load_dwordx4 v[54:57], v191, s[0:3], 0 offen
	v_mfma_f32_16x16x16f16 v[66:69], v[30:31], v[146:147], v[106:109]
	; sched_group_barrier mask(0x00000200) size(1) SyncID(0)
	; sched_group_barrier mask(0x00000008) size(1) SyncID(0)
	;; [unrolled: 1-line block ×15, first 2 shown]
	v_mfma_f32_16x16x16f16 v[62:65], v[32:33], v[148:149], v[66:69]
	v_mfma_f32_16x16x16f16 v[62:65], v[26:27], v[150:151], v[62:65]
	;; [unrolled: 1-line block ×3, first 2 shown]
	; sched_group_barrier mask(0x00000008) size(6) SyncID(0)
	; sched_group_barrier mask(0x00000100) size(1) SyncID(0)
	v_mfma_f32_16x16x16f16 v[34:37], v[30:31], v[162:163], v[102:105]
	; sched_group_barrier mask(0x00000008) size(1) SyncID(0)
	; sched_group_barrier mask(0x00000100) size(1) SyncID(0)
	v_mfma_f32_16x16x16f16 v[38:41], v[18:19], v[146:147], v[98:101]
	; sched_group_barrier mask(0x00000008) size(1) SyncID(0)
	; sched_group_barrier mask(0x00000100) size(1) SyncID(0)
	v_mfma_f32_16x16x16f16 v[30:33], v[32:33], v[164:165], v[34:37]
	; sched_group_barrier mask(0x00000008) size(1) SyncID(0)
	; sched_group_barrier mask(0x00000100) size(1) SyncID(0)
	v_mfma_f32_16x16x16f16 v[34:37], v[20:21], v[148:149], v[38:41]
	; sched_group_barrier mask(0x00000008) size(1) SyncID(0)
	; sched_group_barrier mask(0x00000100) size(1) SyncID(0)
	v_mfma_f32_16x16x16f16 v[30:33], v[26:27], v[160:161], v[30:33]
	v_lshlrev_b32_e32 v26, 1, v168
	buffer_load_ushort v196, v26, s[16:19], 0 offen
	v_add_u32_e32 v26, s14, v26
	buffer_load_ushort v197, v26, s[16:19], 0 offen
	s_waitcnt lgkmcnt(0)
	s_barrier
	ds_read_b128 v[82:85], v177
	v_mfma_f32_16x16x16f16 v[102:105], v[28:29], v[158:159], v[30:33]
	ds_read_b128 v[78:81], v178
	v_add_u32_e32 v168, s31, v168
	; sched_group_barrier mask(0x00000008) size(1) SyncID(0)
	; sched_group_barrier mask(0x00000100) size(1) SyncID(0)
	;; [unrolled: 1-line block ×4, first 2 shown]
	v_mfma_f32_16x16x16f16 v[26:29], v[22:23], v[150:151], v[34:37]
	ds_read_b128 v[74:77], v179 offset:2048
	; sched_group_barrier mask(0x00000008) size(1) SyncID(0)
	; sched_group_barrier mask(0x00000100) size(1) SyncID(0)
	v_mfma_f32_16x16x16f16 v[98:101], v[24:25], v[152:153], v[26:29]
	ds_read_b128 v[70:73], v180 offset:2048
	; sched_group_barrier mask(0x00000008) size(1) SyncID(0)
	; sched_group_barrier mask(0x00000100) size(1) SyncID(0)
	;; [unrolled: 4-line block ×4, first 2 shown]
	v_mfma_f32_16x16x16f16 v[18:21], v[22:23], v[160:161], v[18:21]
	ds_read_b128 v[34:37], v183 offset:6144
	v_add3_u32 v22, v173, v174, v172
	v_add3_u32 v174, v189, v22, v190
	; sched_group_barrier mask(0x00000008) size(1) SyncID(0)
	; sched_group_barrier mask(0x00000100) size(1) SyncID(0)
	v_mfma_f32_16x16x16f16 v[94:97], v[24:25], v[158:159], v[18:21]
	ds_read_b128 v[38:41], v184 offset:6144
	; sched_group_barrier mask(0x00000008) size(1) SyncID(0)
	; sched_group_barrier mask(0x00000100) size(1) SyncID(0)
	v_mfma_f32_16x16x16f16 v[18:21], v[58:59], v[146:147], v[86:89]
	ds_read_b128 v[30:33], v183 offset:8192
	;; [unrolled: 4-line block ×4, first 2 shown]
	; sched_group_barrier mask(0x00000008) size(1) SyncID(0)
	; sched_group_barrier mask(0x00000100) size(1) SyncID(0)
	v_mfma_f32_16x16x16f16 v[86:89], v[16:17], v[152:153], v[18:21]
	; sched_group_barrier mask(0x00000008) size(1) SyncID(0)
	v_mfma_f32_16x16x16f16 v[90:93], v[10:11], v[146:147], v[90:93]
	s_nop 7
	ds_read_b128 v[18:21], v183 offset:10240
	ds_read_b64 v[10:11], v186 offset:16384
	; sched_group_barrier mask(0x00000100) size(1) SyncID(0)
	v_mfma_f32_16x16x16f16 v[126:129], v[58:59], v[162:163], v[126:129]
	v_add_u32_e64 v58, 2, s27
	v_sub_u32_e32 v59, v58, v195
	v_add_u32_e64 v195, 3, s27
	v_sub_u32_e32 v58, v195, v58
	v_mul_lo_u32 v59, v59, s22
	v_mul_lo_u32 v58, v58, s22
	v_add3_u32 v176, v59, v176, v58
	v_mfma_f32_16x16x16f16 v[126:129], v[60:61], v[164:165], v[126:129]
	ds_read_b128 v[58:61], v183 offset:12288
	; sched_group_barrier mask(0x00000008) size(1) SyncID(0)
	; sched_group_barrier mask(0x00000100) size(1) SyncID(0)
	;; [unrolled: 1-line block ×3, first 2 shown]
	v_mfma_f32_16x16x16f16 v[90:93], v[12:13], v[148:149], v[90:93]
	v_mfma_f32_16x16x16f16 v[126:129], v[14:15], v[160:161], v[126:129]
	ds_read_b64 v[14:15], v185 offset:16384
	s_waitcnt lgkmcnt(0)
	v_and_b32_e32 v160, 0xf000f, v14
	v_and_b32_e32 v161, 0xf000f0, v14
	v_mfma_f32_16x16x16f16 v[90:93], v[6:7], v[150:151], v[90:93]
	v_and_b32_e32 v162, 0xf000f, v15
	v_and_b32_e32 v163, 0xf000f0, v15
	v_ashrrev_i32_e32 v15, 8, v15
	v_or_b32_e32 v160, 0x64006400, v160
	v_or_b32_e32 v161, 0x64006400, v161
	;; [unrolled: 1-line block ×4, first 2 shown]
	v_and_b32_e32 v165, 0xf000f, v15
	v_and_b32_e32 v15, 0xf000f0, v15
	v_ashrrev_i32_e32 v14, 8, v14
	v_pk_add_f16 v160, v160, s23 op_sel_hi:[1,0]
	v_pk_fma_f16 v161, v161, s29, v187 op_sel_hi:[1,0,0]
	v_pk_add_f16 v198, v162, s23 op_sel_hi:[1,0]
	v_pk_fma_f16 v199, v163, s29, v187 op_sel_hi:[1,0,0]
	v_or_b32_e32 v162, 0x64006400, v165
	v_or_b32_e32 v163, 0x64006400, v15
	v_and_b32_e32 v164, 0xf000f, v14
	s_waitcnt vmcnt(1)
	v_pk_mul_f16 v146, v196, v160 op_sel_hi:[0,1]
	v_pk_mul_f16 v147, v196, v161 op_sel_hi:[0,1]
	v_pk_add_f16 v200, v162, s23 op_sel_hi:[1,0]
	v_pk_fma_f16 v201, v163, s29, v187 op_sel_hi:[1,0,0]
	v_and_b32_e32 v160, 0xf000f, v10
	v_and_b32_e32 v161, 0xf000f0, v10
	v_ashrrev_i32_e32 v10, 8, v10
	v_and_b32_e32 v162, 0xf000f, v11
	v_and_b32_e32 v163, 0xf000f0, v11
	v_ashrrev_i32_e32 v11, 8, v11
	v_mfma_f32_16x16x16f16 v[126:129], v[16:17], v[158:159], v[126:129]
	v_or_b32_e32 v158, 0x64006400, v164
	v_and_b32_e32 v164, 0xf000f, v10
	v_and_b32_e32 v10, 0xf000f0, v10
	;; [unrolled: 1-line block ×3, first 2 shown]
	v_pk_add_f16 v158, v158, s23 op_sel_hi:[1,0]
	v_or_b32_e32 v164, 0x64006400, v164
	v_or_b32_e32 v202, 0x64006400, v10
	v_mfma_f32_16x16x16f16 v[90:93], v[8:9], v[152:153], v[90:93]
	v_or_b32_e32 v165, 0x64006400, v165
	v_and_b32_e32 v14, 0xf000f0, v14
	v_and_b32_e32 v11, 0xf000f0, v11
	v_pk_mul_f16 v148, v196, v158 op_sel_hi:[0,1]
	v_pk_add_f16 v158, v164, s23 op_sel_hi:[1,0]
	v_pk_fma_f16 v6, v202, s29, v187 op_sel_hi:[1,0,0]
	v_pk_add_f16 v7, v165, s23 op_sel_hi:[1,0]
	v_or_b32_e32 v159, 0x64006400, v14
	ds_read_b128 v[14:17], v184 offset:12288
	v_or_b32_e32 v205, 0x64006400, v11
	ds_read_b128 v[10:13], v183 offset:14336
	s_waitcnt vmcnt(0)
	v_pk_mul_f16 v164, v197, v158 op_sel_hi:[0,1]
	v_pk_mul_f16 v165, v197, v6 op_sel_hi:[0,1]
	;; [unrolled: 1-line block ×3, first 2 shown]
	ds_read_b128 v[6:9], v184 offset:14336
	v_or_b32_e32 v160, 0x64006400, v160
	v_or_b32_e32 v161, 0x64006400, v161
	v_or_b32_e32 v162, 0x64006400, v162
	v_or_b32_e32 v163, 0x64006400, v163
	v_pk_fma_f16 v159, v159, s29, v187 op_sel_hi:[1,0,0]
	v_pk_add_f16 v160, v160, s23 op_sel_hi:[1,0]
	v_pk_fma_f16 v161, v161, s29, v187 op_sel_hi:[1,0,0]
	v_pk_add_f16 v203, v162, s23 op_sel_hi:[1,0]
	v_pk_fma_f16 v204, v163, s29, v187 op_sel_hi:[1,0,0]
	v_pk_fma_f16 v150, v205, s29, v187 op_sel_hi:[1,0,0]
	v_pk_mul_f16 v149, v196, v159 op_sel_hi:[0,1]
	v_pk_mul_f16 v162, v197, v160 op_sel_hi:[0,1]
	;; [unrolled: 1-line block ×10, first 2 shown]
	; sched_barrier mask(0x00000000)
	s_add_i32 s27, s27, 1
	s_add_i32 s11, s11, 64
	v_add_u32_e32 v167, 1, v167
	v_add_u32_e32 v166, 1, v166
	v_add_u32_e32 v191, 0x80, v191
	v_add_u32_e32 v192, 0x80, v192
	v_add_u32_e32 v193, 0x80, v193
	s_cmp_lg_u32 s30, s27
	v_add_u32_e32 v194, 0x80, v194
	s_cbranch_scc1 .LBB2_12
; %bb.13:
	v_mfma_f32_16x16x16f16 v[42:45], v[82:83], v[146:147], v[142:145]
	s_lshl_b64 s[0:1], s[24:25], 1
	s_add_u32 s4, s20, s0
	s_mul_i32 s15, s15, s13
	s_mul_hi_u32 s0, s10, s13
	s_addc_u32 s5, s21, s1
	s_add_i32 s6, s0, s15
	v_mfma_f32_16x16x16f16 v[42:45], v[84:85], v[148:149], v[42:45]
	v_mfma_f32_16x16x16f16 v[42:45], v[78:79], v[150:151], v[42:45]
	;; [unrolled: 1-line block ×48, first 2 shown]
	s_waitcnt lgkmcnt(2)
	v_mfma_f32_16x16x16f16 v[18:21], v[14:15], v[150:151], v[18:21]
	v_mfma_f32_16x16x16f16 v[26:29], v[24:25], v[152:153], v[26:29]
	;; [unrolled: 1-line block ×7, first 2 shown]
	s_waitcnt lgkmcnt(1)
	v_mfma_f32_16x16x16f16 v[14:17], v[10:11], v[146:147], v[90:93]
	v_mfma_f32_16x16x16f16 v[2:5], v[10:11], v[162:163], v[2:5]
	;; [unrolled: 1-line block ×4, first 2 shown]
	s_waitcnt lgkmcnt(0)
	v_mfma_f32_16x16x16f16 v[14:17], v[6:7], v[150:151], v[14:17]
	v_mfma_f32_16x16x16f16 v[2:5], v[6:7], v[160:161], v[2:5]
	;; [unrolled: 1-line block ×4, first 2 shown]
	; sched_barrier mask(0x00000000)
	v_lshrrev_b32_e32 v8, 4, v0
	v_lshlrev_b32_e32 v6, 4, v0
	v_lshlrev_b32_e32 v0, 2, v0
	s_movk_i32 s0, 0x300
	v_and_b32_e32 v9, 60, v0
	v_and_or_b32 v1, v6, s0, v1
	v_or_b32_e32 v0, s12, v9
	v_lshl_or_b32 v10, s26, 7, v8
	v_mad_u64_u32 v[6:7], s[0:1], v10, s13, v[0:1]
	v_cvt_f16_f32_e32 v7, v142
	v_lshlrev_b32_e32 v11, 1, v1
	v_cvt_f16_f32_e32 v1, v143
	v_cvt_f16_f32_e32 v12, v144
	;; [unrolled: 1-line block ×3, first 2 shown]
	s_waitcnt lgkmcnt(0)
	s_barrier
	ds_write_b16 v11, v7
	ds_write_b16 v11, v1 offset:128
	ds_write_b16 v11, v12 offset:256
	;; [unrolled: 1-line block ×3, first 2 shown]
	v_lshlrev_b32_e32 v1, 1, v9
	v_lshl_or_b32 v7, v8, 7, v1
	s_waitcnt lgkmcnt(0)
	s_barrier
	ds_read_b64 v[8:9], v7
	v_cmp_gt_i32_e32 vcc, s9, v0
	v_cmp_gt_i32_e64 s[2:3], s8, v10
	s_add_i32 s0, s9, s6
	s_lshl_b32 s6, s0, 1
	v_bfrev_b32_e32 v12, 1
	s_and_b64 s[0:1], s[2:3], vcc
	v_cndmask_b32_e64 v1, v12, 0, s[0:1]
	s_mov_b32 s7, 0x20000
	v_lshl_add_u32 v1, v6, 1, v1
	s_waitcnt lgkmcnt(0)
	buffer_store_dwordx2 v[8:9], v1, s[4:7], 0 offen
	v_or_b32_e32 v8, 64, v0
	v_cvt_f16_f32_e32 v0, v78
	v_cvt_f16_f32_e32 v1, v79
	;; [unrolled: 1-line block ×4, first 2 shown]
	s_waitcnt lgkmcnt(0)
	s_barrier
	ds_write_b16 v11, v0
	ds_write_b16 v11, v1 offset:128
	ds_write_b16 v11, v13 offset:256
	ds_write_b16 v11, v58 offset:384
	s_waitcnt lgkmcnt(0)
	s_barrier
	ds_read_b64 v[0:1], v7
	v_cmp_gt_i32_e64 s[0:1], s9, v8
	s_and_b64 s[2:3], s[2:3], s[0:1]
	v_add_u32_e32 v9, 64, v6
	v_cndmask_b32_e64 v8, v12, 0, s[2:3]
	v_lshl_add_u32 v8, v9, 1, v8
	s_waitcnt lgkmcnt(0)
	buffer_store_dwordx2 v[0:1], v8, s[4:7], 0 offen
	v_cvt_f16_f32_e32 v0, v74
	v_cvt_f16_f32_e32 v1, v75
	;; [unrolled: 1-line block ×4, first 2 shown]
	v_or_b32_e32 v8, 16, v10
	s_waitcnt lgkmcnt(0)
	s_barrier
	ds_write_b16 v11, v0
	ds_write_b16 v11, v1 offset:128
	ds_write_b16 v11, v13 offset:256
	;; [unrolled: 1-line block ×3, first 2 shown]
	s_waitcnt lgkmcnt(0)
	s_barrier
	ds_read_b64 v[0:1], v7
	v_cmp_gt_i32_e64 s[2:3], s8, v8
	s_lshl_b32 s9, s13, 4
	s_and_b64 s[10:11], s[2:3], s[0:1]
	v_add_u32_e32 v9, s9, v9
	v_cndmask_b32_e64 v8, v12, 0, s[10:11]
	v_lshl_add_u32 v8, v9, 1, v8
	s_waitcnt lgkmcnt(0)
	buffer_store_dwordx2 v[0:1], v8, s[4:7], 0 offen
	v_cvt_f16_f32_e32 v0, v54
	v_cvt_f16_f32_e32 v1, v55
	;; [unrolled: 1-line block ×4, first 2 shown]
	s_waitcnt lgkmcnt(0)
	s_barrier
	ds_write_b16 v11, v0
	ds_write_b16 v11, v1 offset:128
	ds_write_b16 v11, v8 offset:256
	;; [unrolled: 1-line block ×3, first 2 shown]
	s_waitcnt lgkmcnt(0)
	s_barrier
	ds_read_b64 v[0:1], v7
	s_and_b64 s[2:3], vcc, s[2:3]
	v_add_u32_e32 v6, s9, v6
	v_cndmask_b32_e64 v8, v12, 0, s[2:3]
	v_lshl_add_u32 v8, v6, 1, v8
	s_waitcnt lgkmcnt(0)
	buffer_store_dwordx2 v[0:1], v8, s[4:7], 0 offen
	v_cvt_f16_f32_e32 v0, v70
	v_cvt_f16_f32_e32 v1, v71
	;; [unrolled: 1-line block ×4, first 2 shown]
	v_or_b32_e32 v8, 32, v10
	s_waitcnt lgkmcnt(0)
	s_barrier
	ds_write_b16 v11, v0
	ds_write_b16 v11, v1 offset:128
	ds_write_b16 v11, v9 offset:256
	;; [unrolled: 1-line block ×3, first 2 shown]
	s_waitcnt lgkmcnt(0)
	s_barrier
	ds_read_b64 v[0:1], v7
	v_cmp_gt_i32_e64 s[2:3], s8, v8
	s_and_b64 s[10:11], vcc, s[2:3]
	v_add_u32_e32 v6, s9, v6
	v_cndmask_b32_e64 v8, v12, 0, s[10:11]
	v_lshl_add_u32 v8, v6, 1, v8
	s_waitcnt lgkmcnt(0)
	buffer_store_dwordx2 v[0:1], v8, s[4:7], 0 offen
	v_cvt_f16_f32_e32 v0, v46
	v_cvt_f16_f32_e32 v1, v47
	v_cvt_f16_f32_e32 v8, v48
	v_cvt_f16_f32_e32 v9, v49
	s_waitcnt lgkmcnt(0)
	s_barrier
	ds_write_b16 v11, v0
	ds_write_b16 v11, v1 offset:128
	ds_write_b16 v11, v8 offset:256
	;; [unrolled: 1-line block ×3, first 2 shown]
	s_waitcnt lgkmcnt(0)
	s_barrier
	ds_read_b64 v[0:1], v7
	s_and_b64 s[2:3], s[2:3], s[0:1]
	v_add_u32_e32 v8, 64, v6
	v_cndmask_b32_e64 v9, v12, 0, s[2:3]
	v_lshl_add_u32 v9, v8, 1, v9
	s_waitcnt lgkmcnt(0)
	buffer_store_dwordx2 v[0:1], v9, s[4:7], 0 offen
	v_cvt_f16_f32_e32 v0, v50
	v_cvt_f16_f32_e32 v1, v51
	;; [unrolled: 1-line block ×4, first 2 shown]
	v_or_b32_e32 v9, 48, v10
	s_waitcnt lgkmcnt(0)
	s_barrier
	ds_write_b16 v11, v0
	ds_write_b16 v11, v1 offset:128
	ds_write_b16 v11, v13 offset:256
	;; [unrolled: 1-line block ×3, first 2 shown]
	s_waitcnt lgkmcnt(0)
	s_barrier
	ds_read_b64 v[0:1], v7
	v_cmp_gt_i32_e64 s[2:3], s8, v9
	s_and_b64 s[10:11], s[2:3], s[0:1]
	v_add_u32_e32 v8, s9, v8
	v_cndmask_b32_e64 v9, v12, 0, s[10:11]
	v_lshl_add_u32 v8, v8, 1, v9
	s_waitcnt lgkmcnt(0)
	buffer_store_dwordx2 v[0:1], v8, s[4:7], 0 offen
	v_cvt_f16_f32_e32 v0, v42
	v_cvt_f16_f32_e32 v1, v43
	;; [unrolled: 1-line block ×4, first 2 shown]
	s_waitcnt lgkmcnt(0)
	s_barrier
	ds_write_b16 v11, v0
	ds_write_b16 v11, v1 offset:128
	ds_write_b16 v11, v8 offset:256
	;; [unrolled: 1-line block ×3, first 2 shown]
	s_waitcnt lgkmcnt(0)
	s_barrier
	ds_read_b64 v[0:1], v7
	s_and_b64 s[2:3], vcc, s[2:3]
	v_add_u32_e32 v6, s9, v6
	v_cndmask_b32_e64 v8, v12, 0, s[2:3]
	v_lshl_add_u32 v8, v6, 1, v8
	s_waitcnt lgkmcnt(0)
	buffer_store_dwordx2 v[0:1], v8, s[4:7], 0 offen
	v_cvt_f16_f32_e32 v0, v38
	v_cvt_f16_f32_e32 v1, v39
	;; [unrolled: 1-line block ×4, first 2 shown]
	v_or_b32_e32 v8, 64, v10
	s_waitcnt lgkmcnt(0)
	s_barrier
	ds_write_b16 v11, v0
	ds_write_b16 v11, v1 offset:128
	ds_write_b16 v11, v9 offset:256
	;; [unrolled: 1-line block ×3, first 2 shown]
	s_waitcnt lgkmcnt(0)
	s_barrier
	ds_read_b64 v[0:1], v7
	v_cmp_gt_i32_e64 s[2:3], s8, v8
	s_and_b64 s[10:11], vcc, s[2:3]
	v_add_u32_e32 v6, s9, v6
	v_cndmask_b32_e64 v8, v12, 0, s[10:11]
	v_lshl_add_u32 v8, v6, 1, v8
	s_waitcnt lgkmcnt(0)
	buffer_store_dwordx2 v[0:1], v8, s[4:7], 0 offen
	v_cvt_f16_f32_e32 v0, v30
	v_cvt_f16_f32_e32 v1, v31
	;; [unrolled: 1-line block ×4, first 2 shown]
	s_waitcnt lgkmcnt(0)
	s_barrier
	ds_write_b16 v11, v0
	ds_write_b16 v11, v1 offset:128
	ds_write_b16 v11, v8 offset:256
	;; [unrolled: 1-line block ×3, first 2 shown]
	s_waitcnt lgkmcnt(0)
	s_barrier
	ds_read_b64 v[0:1], v7
	s_and_b64 s[2:3], s[2:3], s[0:1]
	v_add_u32_e32 v8, 64, v6
	v_cndmask_b32_e64 v9, v12, 0, s[2:3]
	v_lshl_add_u32 v9, v8, 1, v9
	s_waitcnt lgkmcnt(0)
	buffer_store_dwordx2 v[0:1], v9, s[4:7], 0 offen
	v_cvt_f16_f32_e32 v0, v34
	v_cvt_f16_f32_e32 v1, v35
	;; [unrolled: 1-line block ×4, first 2 shown]
	v_or_b32_e32 v9, 0x50, v10
	s_waitcnt lgkmcnt(0)
	s_barrier
	ds_write_b16 v11, v0
	ds_write_b16 v11, v1 offset:128
	ds_write_b16 v11, v13 offset:256
	ds_write_b16 v11, v30 offset:384
	s_waitcnt lgkmcnt(0)
	s_barrier
	ds_read_b64 v[0:1], v7
	v_cmp_gt_i32_e64 s[2:3], s8, v9
	s_and_b64 s[10:11], s[2:3], s[0:1]
	v_add_u32_e32 v8, s9, v8
	v_cndmask_b32_e64 v9, v12, 0, s[10:11]
	v_lshl_add_u32 v8, v8, 1, v9
	s_waitcnt lgkmcnt(0)
	buffer_store_dwordx2 v[0:1], v8, s[4:7], 0 offen
	v_cvt_f16_f32_e32 v0, v26
	v_cvt_f16_f32_e32 v1, v27
	v_cvt_f16_f32_e32 v8, v28
	v_cvt_f16_f32_e32 v9, v29
	s_waitcnt lgkmcnt(0)
	s_barrier
	ds_write_b16 v11, v0
	ds_write_b16 v11, v1 offset:128
	ds_write_b16 v11, v8 offset:256
	;; [unrolled: 1-line block ×3, first 2 shown]
	s_waitcnt lgkmcnt(0)
	s_barrier
	ds_read_b64 v[0:1], v7
	s_and_b64 s[2:3], vcc, s[2:3]
	v_add_u32_e32 v6, s9, v6
	v_cndmask_b32_e64 v8, v12, 0, s[2:3]
	v_lshl_add_u32 v8, v6, 1, v8
	s_waitcnt lgkmcnt(0)
	buffer_store_dwordx2 v[0:1], v8, s[4:7], 0 offen
	v_cvt_f16_f32_e32 v0, v22
	v_cvt_f16_f32_e32 v1, v23
	;; [unrolled: 1-line block ×4, first 2 shown]
	v_or_b32_e32 v8, 0x60, v10
	s_waitcnt lgkmcnt(0)
	s_barrier
	ds_write_b16 v11, v0
	ds_write_b16 v11, v1 offset:128
	ds_write_b16 v11, v9 offset:256
	;; [unrolled: 1-line block ×3, first 2 shown]
	s_waitcnt lgkmcnt(0)
	s_barrier
	ds_read_b64 v[0:1], v7
	v_cmp_gt_i32_e64 s[2:3], s8, v8
	s_and_b64 s[10:11], vcc, s[2:3]
	v_add_u32_e32 v6, s9, v6
	v_cndmask_b32_e64 v8, v12, 0, s[10:11]
	v_lshl_add_u32 v8, v6, 1, v8
	s_waitcnt lgkmcnt(0)
	buffer_store_dwordx2 v[0:1], v8, s[4:7], 0 offen
	v_cvt_f16_f32_e32 v0, v18
	v_cvt_f16_f32_e32 v1, v19
	;; [unrolled: 1-line block ×4, first 2 shown]
	s_waitcnt lgkmcnt(0)
	s_barrier
	ds_write_b16 v11, v0
	ds_write_b16 v11, v1 offset:128
	ds_write_b16 v11, v8 offset:256
	;; [unrolled: 1-line block ×3, first 2 shown]
	s_waitcnt lgkmcnt(0)
	s_barrier
	ds_read_b64 v[0:1], v7
	s_and_b64 s[2:3], s[2:3], s[0:1]
	v_add_u32_e32 v8, 64, v6
	v_cndmask_b32_e64 v9, v12, 0, s[2:3]
	v_lshl_add_u32 v9, v8, 1, v9
	s_waitcnt lgkmcnt(0)
	buffer_store_dwordx2 v[0:1], v9, s[4:7], 0 offen
	v_cvt_f16_f32_e32 v0, v2
	v_cvt_f16_f32_e32 v1, v3
	;; [unrolled: 1-line block ×4, first 2 shown]
	v_or_b32_e32 v9, 0x70, v10
	s_waitcnt lgkmcnt(0)
	s_barrier
	ds_write_b16 v11, v0
	ds_write_b16 v11, v1 offset:128
	ds_write_b16 v11, v2 offset:256
	;; [unrolled: 1-line block ×3, first 2 shown]
	s_waitcnt lgkmcnt(0)
	s_barrier
	ds_read_b64 v[0:1], v7
	v_cmp_gt_i32_e64 s[2:3], s8, v9
	s_and_b64 s[0:1], s[2:3], s[0:1]
	v_add_u32_e32 v8, s9, v8
	v_cndmask_b32_e64 v2, v12, 0, s[0:1]
	v_lshl_add_u32 v2, v8, 1, v2
	s_waitcnt lgkmcnt(0)
	buffer_store_dwordx2 v[0:1], v2, s[4:7], 0 offen
	v_cvt_f16_f32_e32 v0, v14
	v_cvt_f16_f32_e32 v1, v15
	;; [unrolled: 1-line block ×4, first 2 shown]
	s_waitcnt lgkmcnt(0)
	s_barrier
	ds_write_b16 v11, v0
	ds_write_b16 v11, v1 offset:128
	ds_write_b16 v11, v2 offset:256
	;; [unrolled: 1-line block ×3, first 2 shown]
	s_waitcnt lgkmcnt(0)
	s_barrier
	ds_read_b64 v[0:1], v7
	s_and_b64 s[0:1], vcc, s[2:3]
	v_add_u32_e32 v2, s9, v6
	v_cndmask_b32_e64 v3, v12, 0, s[0:1]
	v_lshl_add_u32 v2, v2, 1, v3
	s_waitcnt lgkmcnt(0)
	buffer_store_dwordx2 v[0:1], v2, s[4:7], 0 offen
	s_endpgm
	.section	.rodata,"a",@progbits
	.p2align	6, 0x0
	.amdhsa_kernel _ZN2ck27kernel_gemm_xdl_cshuffle_v3INS_28GridwiseGemm_xdl_cshuffle_v3INS_13tensor_layout4gemm8RowMajorENS3_11ColumnMajorES4_DF16_NS_7pk_i4_tEfDF16_DF16_NS_16tensor_operation12element_wise11PassThroughES9_S9_LNS7_6device18GemmSpecializationE0ELi256ELi1ELi128ELi128ELi128ELi64ELi8ELi16ELi16ELi16ELi8ELi2ENS_8SequenceIJLi8ELi32ELi1EEEENSC_IJLi1ELi0ELi2EEEESE_Li2ELi8ELi8ELb0ELi0ENSC_IJLi2ELi128ELi1EEEESE_SE_Li2ELi16ELi16ELb0ELi0ELi1ELi1ENSC_IJLi1ELi16ELi1ELi16EEEELi4ELNS_26BlockGemmPipelineSchedulerE0ELNS_24BlockGemmPipelineVersionE2EDF16_DF16_Lb0ELb1EEELb1ELNS_25InMemoryDataOperationEnumE0ELi2ELNS_10TailNumberE10EEEvNT_8ArgumentE
		.amdhsa_group_segment_fixed_size 20480
		.amdhsa_private_segment_fixed_size 0
		.amdhsa_kernarg_size 120
		.amdhsa_user_sgpr_count 6
		.amdhsa_user_sgpr_private_segment_buffer 1
		.amdhsa_user_sgpr_dispatch_ptr 0
		.amdhsa_user_sgpr_queue_ptr 0
		.amdhsa_user_sgpr_kernarg_segment_ptr 1
		.amdhsa_user_sgpr_dispatch_id 0
		.amdhsa_user_sgpr_flat_scratch_init 0
		.amdhsa_user_sgpr_kernarg_preload_length 0
		.amdhsa_user_sgpr_kernarg_preload_offset 0
		.amdhsa_user_sgpr_private_segment_size 0
		.amdhsa_uses_dynamic_stack 0
		.amdhsa_system_sgpr_private_segment_wavefront_offset 0
		.amdhsa_system_sgpr_workgroup_id_x 1
		.amdhsa_system_sgpr_workgroup_id_y 0
		.amdhsa_system_sgpr_workgroup_id_z 1
		.amdhsa_system_sgpr_workgroup_info 0
		.amdhsa_system_vgpr_workitem_id 0
		.amdhsa_next_free_vgpr 206
		.amdhsa_next_free_sgpr 36
		.amdhsa_accum_offset 208
		.amdhsa_reserve_vcc 1
		.amdhsa_reserve_flat_scratch 0
		.amdhsa_float_round_mode_32 0
		.amdhsa_float_round_mode_16_64 0
		.amdhsa_float_denorm_mode_32 3
		.amdhsa_float_denorm_mode_16_64 3
		.amdhsa_dx10_clamp 1
		.amdhsa_ieee_mode 1
		.amdhsa_fp16_overflow 0
		.amdhsa_tg_split 0
		.amdhsa_exception_fp_ieee_invalid_op 0
		.amdhsa_exception_fp_denorm_src 0
		.amdhsa_exception_fp_ieee_div_zero 0
		.amdhsa_exception_fp_ieee_overflow 0
		.amdhsa_exception_fp_ieee_underflow 0
		.amdhsa_exception_fp_ieee_inexact 0
		.amdhsa_exception_int_div_zero 0
	.end_amdhsa_kernel
	.section	.text._ZN2ck27kernel_gemm_xdl_cshuffle_v3INS_28GridwiseGemm_xdl_cshuffle_v3INS_13tensor_layout4gemm8RowMajorENS3_11ColumnMajorES4_DF16_NS_7pk_i4_tEfDF16_DF16_NS_16tensor_operation12element_wise11PassThroughES9_S9_LNS7_6device18GemmSpecializationE0ELi256ELi1ELi128ELi128ELi128ELi64ELi8ELi16ELi16ELi16ELi8ELi2ENS_8SequenceIJLi8ELi32ELi1EEEENSC_IJLi1ELi0ELi2EEEESE_Li2ELi8ELi8ELb0ELi0ENSC_IJLi2ELi128ELi1EEEESE_SE_Li2ELi16ELi16ELb0ELi0ELi1ELi1ENSC_IJLi1ELi16ELi1ELi16EEEELi4ELNS_26BlockGemmPipelineSchedulerE0ELNS_24BlockGemmPipelineVersionE2EDF16_DF16_Lb0ELb1EEELb1ELNS_25InMemoryDataOperationEnumE0ELi2ELNS_10TailNumberE10EEEvNT_8ArgumentE,"axG",@progbits,_ZN2ck27kernel_gemm_xdl_cshuffle_v3INS_28GridwiseGemm_xdl_cshuffle_v3INS_13tensor_layout4gemm8RowMajorENS3_11ColumnMajorES4_DF16_NS_7pk_i4_tEfDF16_DF16_NS_16tensor_operation12element_wise11PassThroughES9_S9_LNS7_6device18GemmSpecializationE0ELi256ELi1ELi128ELi128ELi128ELi64ELi8ELi16ELi16ELi16ELi8ELi2ENS_8SequenceIJLi8ELi32ELi1EEEENSC_IJLi1ELi0ELi2EEEESE_Li2ELi8ELi8ELb0ELi0ENSC_IJLi2ELi128ELi1EEEESE_SE_Li2ELi16ELi16ELb0ELi0ELi1ELi1ENSC_IJLi1ELi16ELi1ELi16EEEELi4ELNS_26BlockGemmPipelineSchedulerE0ELNS_24BlockGemmPipelineVersionE2EDF16_DF16_Lb0ELb1EEELb1ELNS_25InMemoryDataOperationEnumE0ELi2ELNS_10TailNumberE10EEEvNT_8ArgumentE,comdat
.Lfunc_end2:
	.size	_ZN2ck27kernel_gemm_xdl_cshuffle_v3INS_28GridwiseGemm_xdl_cshuffle_v3INS_13tensor_layout4gemm8RowMajorENS3_11ColumnMajorES4_DF16_NS_7pk_i4_tEfDF16_DF16_NS_16tensor_operation12element_wise11PassThroughES9_S9_LNS7_6device18GemmSpecializationE0ELi256ELi1ELi128ELi128ELi128ELi64ELi8ELi16ELi16ELi16ELi8ELi2ENS_8SequenceIJLi8ELi32ELi1EEEENSC_IJLi1ELi0ELi2EEEESE_Li2ELi8ELi8ELb0ELi0ENSC_IJLi2ELi128ELi1EEEESE_SE_Li2ELi16ELi16ELb0ELi0ELi1ELi1ENSC_IJLi1ELi16ELi1ELi16EEEELi4ELNS_26BlockGemmPipelineSchedulerE0ELNS_24BlockGemmPipelineVersionE2EDF16_DF16_Lb0ELb1EEELb1ELNS_25InMemoryDataOperationEnumE0ELi2ELNS_10TailNumberE10EEEvNT_8ArgumentE, .Lfunc_end2-_ZN2ck27kernel_gemm_xdl_cshuffle_v3INS_28GridwiseGemm_xdl_cshuffle_v3INS_13tensor_layout4gemm8RowMajorENS3_11ColumnMajorES4_DF16_NS_7pk_i4_tEfDF16_DF16_NS_16tensor_operation12element_wise11PassThroughES9_S9_LNS7_6device18GemmSpecializationE0ELi256ELi1ELi128ELi128ELi128ELi64ELi8ELi16ELi16ELi16ELi8ELi2ENS_8SequenceIJLi8ELi32ELi1EEEENSC_IJLi1ELi0ELi2EEEESE_Li2ELi8ELi8ELb0ELi0ENSC_IJLi2ELi128ELi1EEEESE_SE_Li2ELi16ELi16ELb0ELi0ELi1ELi1ENSC_IJLi1ELi16ELi1ELi16EEEELi4ELNS_26BlockGemmPipelineSchedulerE0ELNS_24BlockGemmPipelineVersionE2EDF16_DF16_Lb0ELb1EEELb1ELNS_25InMemoryDataOperationEnumE0ELi2ELNS_10TailNumberE10EEEvNT_8ArgumentE
                                        ; -- End function
	.section	.AMDGPU.csdata,"",@progbits
; Kernel info:
; codeLenInByte = 7236
; NumSgprs: 40
; NumVgprs: 206
; NumAgprs: 0
; TotalNumVgprs: 206
; ScratchSize: 0
; MemoryBound: 0
; FloatMode: 240
; IeeeMode: 1
; LDSByteSize: 20480 bytes/workgroup (compile time only)
; SGPRBlocks: 4
; VGPRBlocks: 25
; NumSGPRsForWavesPerEU: 40
; NumVGPRsForWavesPerEU: 206
; AccumOffset: 208
; Occupancy: 2
; WaveLimiterHint : 0
; COMPUTE_PGM_RSRC2:SCRATCH_EN: 0
; COMPUTE_PGM_RSRC2:USER_SGPR: 6
; COMPUTE_PGM_RSRC2:TRAP_HANDLER: 0
; COMPUTE_PGM_RSRC2:TGID_X_EN: 1
; COMPUTE_PGM_RSRC2:TGID_Y_EN: 0
; COMPUTE_PGM_RSRC2:TGID_Z_EN: 1
; COMPUTE_PGM_RSRC2:TIDIG_COMP_CNT: 0
; COMPUTE_PGM_RSRC3_GFX90A:ACCUM_OFFSET: 51
; COMPUTE_PGM_RSRC3_GFX90A:TG_SPLIT: 0
	.section	.text._ZN2ck27kernel_gemm_xdl_cshuffle_v3INS_28GridwiseGemm_xdl_cshuffle_v3INS_13tensor_layout4gemm8RowMajorENS3_11ColumnMajorES4_DF16_NS_7pk_i4_tEfDF16_DF16_NS_16tensor_operation12element_wise11PassThroughES9_S9_LNS7_6device18GemmSpecializationE0ELi256ELi1ELi128ELi128ELi128ELi64ELi8ELi16ELi16ELi16ELi8ELi1ENS_8SequenceIJLi8ELi32ELi1EEEENSC_IJLi1ELi0ELi2EEEESE_Li2ELi8ELi8ELb0ELi0ENSC_IJLi2ELi128ELi1EEEESE_SE_Li2ELi16ELi16ELb0ELi0ELi1ELi1ENSC_IJLi1ELi16ELi1ELi16EEEELi4ELNS_26BlockGemmPipelineSchedulerE0ELNS_24BlockGemmPipelineVersionE2EDF16_DF16_Lb0ELb1EEELb1ELNS_25InMemoryDataOperationEnumE1ELi2ELNS_10TailNumberE10EEEvNT_8ArgumentE,"axG",@progbits,_ZN2ck27kernel_gemm_xdl_cshuffle_v3INS_28GridwiseGemm_xdl_cshuffle_v3INS_13tensor_layout4gemm8RowMajorENS3_11ColumnMajorES4_DF16_NS_7pk_i4_tEfDF16_DF16_NS_16tensor_operation12element_wise11PassThroughES9_S9_LNS7_6device18GemmSpecializationE0ELi256ELi1ELi128ELi128ELi128ELi64ELi8ELi16ELi16ELi16ELi8ELi1ENS_8SequenceIJLi8ELi32ELi1EEEENSC_IJLi1ELi0ELi2EEEESE_Li2ELi8ELi8ELb0ELi0ENSC_IJLi2ELi128ELi1EEEESE_SE_Li2ELi16ELi16ELb0ELi0ELi1ELi1ENSC_IJLi1ELi16ELi1ELi16EEEELi4ELNS_26BlockGemmPipelineSchedulerE0ELNS_24BlockGemmPipelineVersionE2EDF16_DF16_Lb0ELb1EEELb1ELNS_25InMemoryDataOperationEnumE1ELi2ELNS_10TailNumberE10EEEvNT_8ArgumentE,comdat
	.protected	_ZN2ck27kernel_gemm_xdl_cshuffle_v3INS_28GridwiseGemm_xdl_cshuffle_v3INS_13tensor_layout4gemm8RowMajorENS3_11ColumnMajorES4_DF16_NS_7pk_i4_tEfDF16_DF16_NS_16tensor_operation12element_wise11PassThroughES9_S9_LNS7_6device18GemmSpecializationE0ELi256ELi1ELi128ELi128ELi128ELi64ELi8ELi16ELi16ELi16ELi8ELi1ENS_8SequenceIJLi8ELi32ELi1EEEENSC_IJLi1ELi0ELi2EEEESE_Li2ELi8ELi8ELb0ELi0ENSC_IJLi2ELi128ELi1EEEESE_SE_Li2ELi16ELi16ELb0ELi0ELi1ELi1ENSC_IJLi1ELi16ELi1ELi16EEEELi4ELNS_26BlockGemmPipelineSchedulerE0ELNS_24BlockGemmPipelineVersionE2EDF16_DF16_Lb0ELb1EEELb1ELNS_25InMemoryDataOperationEnumE1ELi2ELNS_10TailNumberE10EEEvNT_8ArgumentE ; -- Begin function _ZN2ck27kernel_gemm_xdl_cshuffle_v3INS_28GridwiseGemm_xdl_cshuffle_v3INS_13tensor_layout4gemm8RowMajorENS3_11ColumnMajorES4_DF16_NS_7pk_i4_tEfDF16_DF16_NS_16tensor_operation12element_wise11PassThroughES9_S9_LNS7_6device18GemmSpecializationE0ELi256ELi1ELi128ELi128ELi128ELi64ELi8ELi16ELi16ELi16ELi8ELi1ENS_8SequenceIJLi8ELi32ELi1EEEENSC_IJLi1ELi0ELi2EEEESE_Li2ELi8ELi8ELb0ELi0ENSC_IJLi2ELi128ELi1EEEESE_SE_Li2ELi16ELi16ELb0ELi0ELi1ELi1ENSC_IJLi1ELi16ELi1ELi16EEEELi4ELNS_26BlockGemmPipelineSchedulerE0ELNS_24BlockGemmPipelineVersionE2EDF16_DF16_Lb0ELb1EEELb1ELNS_25InMemoryDataOperationEnumE1ELi2ELNS_10TailNumberE10EEEvNT_8ArgumentE
	.globl	_ZN2ck27kernel_gemm_xdl_cshuffle_v3INS_28GridwiseGemm_xdl_cshuffle_v3INS_13tensor_layout4gemm8RowMajorENS3_11ColumnMajorES4_DF16_NS_7pk_i4_tEfDF16_DF16_NS_16tensor_operation12element_wise11PassThroughES9_S9_LNS7_6device18GemmSpecializationE0ELi256ELi1ELi128ELi128ELi128ELi64ELi8ELi16ELi16ELi16ELi8ELi1ENS_8SequenceIJLi8ELi32ELi1EEEENSC_IJLi1ELi0ELi2EEEESE_Li2ELi8ELi8ELb0ELi0ENSC_IJLi2ELi128ELi1EEEESE_SE_Li2ELi16ELi16ELb0ELi0ELi1ELi1ENSC_IJLi1ELi16ELi1ELi16EEEELi4ELNS_26BlockGemmPipelineSchedulerE0ELNS_24BlockGemmPipelineVersionE2EDF16_DF16_Lb0ELb1EEELb1ELNS_25InMemoryDataOperationEnumE1ELi2ELNS_10TailNumberE10EEEvNT_8ArgumentE
	.p2align	8
	.type	_ZN2ck27kernel_gemm_xdl_cshuffle_v3INS_28GridwiseGemm_xdl_cshuffle_v3INS_13tensor_layout4gemm8RowMajorENS3_11ColumnMajorES4_DF16_NS_7pk_i4_tEfDF16_DF16_NS_16tensor_operation12element_wise11PassThroughES9_S9_LNS7_6device18GemmSpecializationE0ELi256ELi1ELi128ELi128ELi128ELi64ELi8ELi16ELi16ELi16ELi8ELi1ENS_8SequenceIJLi8ELi32ELi1EEEENSC_IJLi1ELi0ELi2EEEESE_Li2ELi8ELi8ELb0ELi0ENSC_IJLi2ELi128ELi1EEEESE_SE_Li2ELi16ELi16ELb0ELi0ELi1ELi1ENSC_IJLi1ELi16ELi1ELi16EEEELi4ELNS_26BlockGemmPipelineSchedulerE0ELNS_24BlockGemmPipelineVersionE2EDF16_DF16_Lb0ELb1EEELb1ELNS_25InMemoryDataOperationEnumE1ELi2ELNS_10TailNumberE10EEEvNT_8ArgumentE,@function
_ZN2ck27kernel_gemm_xdl_cshuffle_v3INS_28GridwiseGemm_xdl_cshuffle_v3INS_13tensor_layout4gemm8RowMajorENS3_11ColumnMajorES4_DF16_NS_7pk_i4_tEfDF16_DF16_NS_16tensor_operation12element_wise11PassThroughES9_S9_LNS7_6device18GemmSpecializationE0ELi256ELi1ELi128ELi128ELi128ELi64ELi8ELi16ELi16ELi16ELi8ELi1ENS_8SequenceIJLi8ELi32ELi1EEEENSC_IJLi1ELi0ELi2EEEESE_Li2ELi8ELi8ELb0ELi0ENSC_IJLi2ELi128ELi1EEEESE_SE_Li2ELi16ELi16ELb0ELi0ELi1ELi1ENSC_IJLi1ELi16ELi1ELi16EEEELi4ELNS_26BlockGemmPipelineSchedulerE0ELNS_24BlockGemmPipelineVersionE2EDF16_DF16_Lb0ELb1EEELb1ELNS_25InMemoryDataOperationEnumE1ELi2ELNS_10TailNumberE10EEEvNT_8ArgumentE: ; @_ZN2ck27kernel_gemm_xdl_cshuffle_v3INS_28GridwiseGemm_xdl_cshuffle_v3INS_13tensor_layout4gemm8RowMajorENS3_11ColumnMajorES4_DF16_NS_7pk_i4_tEfDF16_DF16_NS_16tensor_operation12element_wise11PassThroughES9_S9_LNS7_6device18GemmSpecializationE0ELi256ELi1ELi128ELi128ELi128ELi64ELi8ELi16ELi16ELi16ELi8ELi1ENS_8SequenceIJLi8ELi32ELi1EEEENSC_IJLi1ELi0ELi2EEEESE_Li2ELi8ELi8ELb0ELi0ENSC_IJLi2ELi128ELi1EEEESE_SE_Li2ELi16ELi16ELb0ELi0ELi1ELi1ENSC_IJLi1ELi16ELi1ELi16EEEELi4ELNS_26BlockGemmPipelineSchedulerE0ELNS_24BlockGemmPipelineVersionE2EDF16_DF16_Lb0ELb1EEELb1ELNS_25InMemoryDataOperationEnumE1ELi2ELNS_10TailNumberE10EEEvNT_8ArgumentE
; %bb.0:
	s_endpgm
	.section	.rodata,"a",@progbits
	.p2align	6, 0x0
	.amdhsa_kernel _ZN2ck27kernel_gemm_xdl_cshuffle_v3INS_28GridwiseGemm_xdl_cshuffle_v3INS_13tensor_layout4gemm8RowMajorENS3_11ColumnMajorES4_DF16_NS_7pk_i4_tEfDF16_DF16_NS_16tensor_operation12element_wise11PassThroughES9_S9_LNS7_6device18GemmSpecializationE0ELi256ELi1ELi128ELi128ELi128ELi64ELi8ELi16ELi16ELi16ELi8ELi1ENS_8SequenceIJLi8ELi32ELi1EEEENSC_IJLi1ELi0ELi2EEEESE_Li2ELi8ELi8ELb0ELi0ENSC_IJLi2ELi128ELi1EEEESE_SE_Li2ELi16ELi16ELb0ELi0ELi1ELi1ENSC_IJLi1ELi16ELi1ELi16EEEELi4ELNS_26BlockGemmPipelineSchedulerE0ELNS_24BlockGemmPipelineVersionE2EDF16_DF16_Lb0ELb1EEELb1ELNS_25InMemoryDataOperationEnumE1ELi2ELNS_10TailNumberE10EEEvNT_8ArgumentE
		.amdhsa_group_segment_fixed_size 0
		.amdhsa_private_segment_fixed_size 0
		.amdhsa_kernarg_size 120
		.amdhsa_user_sgpr_count 6
		.amdhsa_user_sgpr_private_segment_buffer 1
		.amdhsa_user_sgpr_dispatch_ptr 0
		.amdhsa_user_sgpr_queue_ptr 0
		.amdhsa_user_sgpr_kernarg_segment_ptr 1
		.amdhsa_user_sgpr_dispatch_id 0
		.amdhsa_user_sgpr_flat_scratch_init 0
		.amdhsa_user_sgpr_kernarg_preload_length 0
		.amdhsa_user_sgpr_kernarg_preload_offset 0
		.amdhsa_user_sgpr_private_segment_size 0
		.amdhsa_uses_dynamic_stack 0
		.amdhsa_system_sgpr_private_segment_wavefront_offset 0
		.amdhsa_system_sgpr_workgroup_id_x 1
		.amdhsa_system_sgpr_workgroup_id_y 0
		.amdhsa_system_sgpr_workgroup_id_z 0
		.amdhsa_system_sgpr_workgroup_info 0
		.amdhsa_system_vgpr_workitem_id 0
		.amdhsa_next_free_vgpr 1
		.amdhsa_next_free_sgpr 0
		.amdhsa_accum_offset 4
		.amdhsa_reserve_vcc 0
		.amdhsa_reserve_flat_scratch 0
		.amdhsa_float_round_mode_32 0
		.amdhsa_float_round_mode_16_64 0
		.amdhsa_float_denorm_mode_32 3
		.amdhsa_float_denorm_mode_16_64 3
		.amdhsa_dx10_clamp 1
		.amdhsa_ieee_mode 1
		.amdhsa_fp16_overflow 0
		.amdhsa_tg_split 0
		.amdhsa_exception_fp_ieee_invalid_op 0
		.amdhsa_exception_fp_denorm_src 0
		.amdhsa_exception_fp_ieee_div_zero 0
		.amdhsa_exception_fp_ieee_overflow 0
		.amdhsa_exception_fp_ieee_underflow 0
		.amdhsa_exception_fp_ieee_inexact 0
		.amdhsa_exception_int_div_zero 0
	.end_amdhsa_kernel
	.section	.text._ZN2ck27kernel_gemm_xdl_cshuffle_v3INS_28GridwiseGemm_xdl_cshuffle_v3INS_13tensor_layout4gemm8RowMajorENS3_11ColumnMajorES4_DF16_NS_7pk_i4_tEfDF16_DF16_NS_16tensor_operation12element_wise11PassThroughES9_S9_LNS7_6device18GemmSpecializationE0ELi256ELi1ELi128ELi128ELi128ELi64ELi8ELi16ELi16ELi16ELi8ELi1ENS_8SequenceIJLi8ELi32ELi1EEEENSC_IJLi1ELi0ELi2EEEESE_Li2ELi8ELi8ELb0ELi0ENSC_IJLi2ELi128ELi1EEEESE_SE_Li2ELi16ELi16ELb0ELi0ELi1ELi1ENSC_IJLi1ELi16ELi1ELi16EEEELi4ELNS_26BlockGemmPipelineSchedulerE0ELNS_24BlockGemmPipelineVersionE2EDF16_DF16_Lb0ELb1EEELb1ELNS_25InMemoryDataOperationEnumE1ELi2ELNS_10TailNumberE10EEEvNT_8ArgumentE,"axG",@progbits,_ZN2ck27kernel_gemm_xdl_cshuffle_v3INS_28GridwiseGemm_xdl_cshuffle_v3INS_13tensor_layout4gemm8RowMajorENS3_11ColumnMajorES4_DF16_NS_7pk_i4_tEfDF16_DF16_NS_16tensor_operation12element_wise11PassThroughES9_S9_LNS7_6device18GemmSpecializationE0ELi256ELi1ELi128ELi128ELi128ELi64ELi8ELi16ELi16ELi16ELi8ELi1ENS_8SequenceIJLi8ELi32ELi1EEEENSC_IJLi1ELi0ELi2EEEESE_Li2ELi8ELi8ELb0ELi0ENSC_IJLi2ELi128ELi1EEEESE_SE_Li2ELi16ELi16ELb0ELi0ELi1ELi1ENSC_IJLi1ELi16ELi1ELi16EEEELi4ELNS_26BlockGemmPipelineSchedulerE0ELNS_24BlockGemmPipelineVersionE2EDF16_DF16_Lb0ELb1EEELb1ELNS_25InMemoryDataOperationEnumE1ELi2ELNS_10TailNumberE10EEEvNT_8ArgumentE,comdat
.Lfunc_end3:
	.size	_ZN2ck27kernel_gemm_xdl_cshuffle_v3INS_28GridwiseGemm_xdl_cshuffle_v3INS_13tensor_layout4gemm8RowMajorENS3_11ColumnMajorES4_DF16_NS_7pk_i4_tEfDF16_DF16_NS_16tensor_operation12element_wise11PassThroughES9_S9_LNS7_6device18GemmSpecializationE0ELi256ELi1ELi128ELi128ELi128ELi64ELi8ELi16ELi16ELi16ELi8ELi1ENS_8SequenceIJLi8ELi32ELi1EEEENSC_IJLi1ELi0ELi2EEEESE_Li2ELi8ELi8ELb0ELi0ENSC_IJLi2ELi128ELi1EEEESE_SE_Li2ELi16ELi16ELb0ELi0ELi1ELi1ENSC_IJLi1ELi16ELi1ELi16EEEELi4ELNS_26BlockGemmPipelineSchedulerE0ELNS_24BlockGemmPipelineVersionE2EDF16_DF16_Lb0ELb1EEELb1ELNS_25InMemoryDataOperationEnumE1ELi2ELNS_10TailNumberE10EEEvNT_8ArgumentE, .Lfunc_end3-_ZN2ck27kernel_gemm_xdl_cshuffle_v3INS_28GridwiseGemm_xdl_cshuffle_v3INS_13tensor_layout4gemm8RowMajorENS3_11ColumnMajorES4_DF16_NS_7pk_i4_tEfDF16_DF16_NS_16tensor_operation12element_wise11PassThroughES9_S9_LNS7_6device18GemmSpecializationE0ELi256ELi1ELi128ELi128ELi128ELi64ELi8ELi16ELi16ELi16ELi8ELi1ENS_8SequenceIJLi8ELi32ELi1EEEENSC_IJLi1ELi0ELi2EEEESE_Li2ELi8ELi8ELb0ELi0ENSC_IJLi2ELi128ELi1EEEESE_SE_Li2ELi16ELi16ELb0ELi0ELi1ELi1ENSC_IJLi1ELi16ELi1ELi16EEEELi4ELNS_26BlockGemmPipelineSchedulerE0ELNS_24BlockGemmPipelineVersionE2EDF16_DF16_Lb0ELb1EEELb1ELNS_25InMemoryDataOperationEnumE1ELi2ELNS_10TailNumberE10EEEvNT_8ArgumentE
                                        ; -- End function
	.section	.AMDGPU.csdata,"",@progbits
; Kernel info:
; codeLenInByte = 4
; NumSgprs: 4
; NumVgprs: 0
; NumAgprs: 0
; TotalNumVgprs: 0
; ScratchSize: 0
; MemoryBound: 0
; FloatMode: 240
; IeeeMode: 1
; LDSByteSize: 0 bytes/workgroup (compile time only)
; SGPRBlocks: 0
; VGPRBlocks: 0
; NumSGPRsForWavesPerEU: 4
; NumVGPRsForWavesPerEU: 1
; AccumOffset: 4
; Occupancy: 8
; WaveLimiterHint : 0
; COMPUTE_PGM_RSRC2:SCRATCH_EN: 0
; COMPUTE_PGM_RSRC2:USER_SGPR: 6
; COMPUTE_PGM_RSRC2:TRAP_HANDLER: 0
; COMPUTE_PGM_RSRC2:TGID_X_EN: 1
; COMPUTE_PGM_RSRC2:TGID_Y_EN: 0
; COMPUTE_PGM_RSRC2:TGID_Z_EN: 0
; COMPUTE_PGM_RSRC2:TIDIG_COMP_CNT: 0
; COMPUTE_PGM_RSRC3_GFX90A:ACCUM_OFFSET: 0
; COMPUTE_PGM_RSRC3_GFX90A:TG_SPLIT: 0
	.section	.text._ZN2ck27kernel_gemm_xdl_cshuffle_v3INS_28GridwiseGemm_xdl_cshuffle_v3INS_13tensor_layout4gemm8RowMajorENS3_11ColumnMajorES4_DF16_NS_7pk_i4_tEfDF16_DF16_NS_16tensor_operation12element_wise11PassThroughES9_S9_LNS7_6device18GemmSpecializationE0ELi256ELi1ELi128ELi128ELi128ELi64ELi8ELi16ELi16ELi16ELi8ELi1ENS_8SequenceIJLi8ELi32ELi1EEEENSC_IJLi1ELi0ELi2EEEESE_Li2ELi8ELi8ELb0ELi0ENSC_IJLi2ELi128ELi1EEEESE_SE_Li2ELi16ELi16ELb0ELi0ELi1ELi1ENSC_IJLi1ELi16ELi1ELi16EEEELi4ELNS_26BlockGemmPipelineSchedulerE0ELNS_24BlockGemmPipelineVersionE2EDF16_DF16_Lb0ELb1EEELb1ELNS_25InMemoryDataOperationEnumE0ELi2ELNS_10TailNumberE10EEEvNT_8ArgumentE,"axG",@progbits,_ZN2ck27kernel_gemm_xdl_cshuffle_v3INS_28GridwiseGemm_xdl_cshuffle_v3INS_13tensor_layout4gemm8RowMajorENS3_11ColumnMajorES4_DF16_NS_7pk_i4_tEfDF16_DF16_NS_16tensor_operation12element_wise11PassThroughES9_S9_LNS7_6device18GemmSpecializationE0ELi256ELi1ELi128ELi128ELi128ELi64ELi8ELi16ELi16ELi16ELi8ELi1ENS_8SequenceIJLi8ELi32ELi1EEEENSC_IJLi1ELi0ELi2EEEESE_Li2ELi8ELi8ELb0ELi0ENSC_IJLi2ELi128ELi1EEEESE_SE_Li2ELi16ELi16ELb0ELi0ELi1ELi1ENSC_IJLi1ELi16ELi1ELi16EEEELi4ELNS_26BlockGemmPipelineSchedulerE0ELNS_24BlockGemmPipelineVersionE2EDF16_DF16_Lb0ELb1EEELb1ELNS_25InMemoryDataOperationEnumE0ELi2ELNS_10TailNumberE10EEEvNT_8ArgumentE,comdat
	.protected	_ZN2ck27kernel_gemm_xdl_cshuffle_v3INS_28GridwiseGemm_xdl_cshuffle_v3INS_13tensor_layout4gemm8RowMajorENS3_11ColumnMajorES4_DF16_NS_7pk_i4_tEfDF16_DF16_NS_16tensor_operation12element_wise11PassThroughES9_S9_LNS7_6device18GemmSpecializationE0ELi256ELi1ELi128ELi128ELi128ELi64ELi8ELi16ELi16ELi16ELi8ELi1ENS_8SequenceIJLi8ELi32ELi1EEEENSC_IJLi1ELi0ELi2EEEESE_Li2ELi8ELi8ELb0ELi0ENSC_IJLi2ELi128ELi1EEEESE_SE_Li2ELi16ELi16ELb0ELi0ELi1ELi1ENSC_IJLi1ELi16ELi1ELi16EEEELi4ELNS_26BlockGemmPipelineSchedulerE0ELNS_24BlockGemmPipelineVersionE2EDF16_DF16_Lb0ELb1EEELb1ELNS_25InMemoryDataOperationEnumE0ELi2ELNS_10TailNumberE10EEEvNT_8ArgumentE ; -- Begin function _ZN2ck27kernel_gemm_xdl_cshuffle_v3INS_28GridwiseGemm_xdl_cshuffle_v3INS_13tensor_layout4gemm8RowMajorENS3_11ColumnMajorES4_DF16_NS_7pk_i4_tEfDF16_DF16_NS_16tensor_operation12element_wise11PassThroughES9_S9_LNS7_6device18GemmSpecializationE0ELi256ELi1ELi128ELi128ELi128ELi64ELi8ELi16ELi16ELi16ELi8ELi1ENS_8SequenceIJLi8ELi32ELi1EEEENSC_IJLi1ELi0ELi2EEEESE_Li2ELi8ELi8ELb0ELi0ENSC_IJLi2ELi128ELi1EEEESE_SE_Li2ELi16ELi16ELb0ELi0ELi1ELi1ENSC_IJLi1ELi16ELi1ELi16EEEELi4ELNS_26BlockGemmPipelineSchedulerE0ELNS_24BlockGemmPipelineVersionE2EDF16_DF16_Lb0ELb1EEELb1ELNS_25InMemoryDataOperationEnumE0ELi2ELNS_10TailNumberE10EEEvNT_8ArgumentE
	.globl	_ZN2ck27kernel_gemm_xdl_cshuffle_v3INS_28GridwiseGemm_xdl_cshuffle_v3INS_13tensor_layout4gemm8RowMajorENS3_11ColumnMajorES4_DF16_NS_7pk_i4_tEfDF16_DF16_NS_16tensor_operation12element_wise11PassThroughES9_S9_LNS7_6device18GemmSpecializationE0ELi256ELi1ELi128ELi128ELi128ELi64ELi8ELi16ELi16ELi16ELi8ELi1ENS_8SequenceIJLi8ELi32ELi1EEEENSC_IJLi1ELi0ELi2EEEESE_Li2ELi8ELi8ELb0ELi0ENSC_IJLi2ELi128ELi1EEEESE_SE_Li2ELi16ELi16ELb0ELi0ELi1ELi1ENSC_IJLi1ELi16ELi1ELi16EEEELi4ELNS_26BlockGemmPipelineSchedulerE0ELNS_24BlockGemmPipelineVersionE2EDF16_DF16_Lb0ELb1EEELb1ELNS_25InMemoryDataOperationEnumE0ELi2ELNS_10TailNumberE10EEEvNT_8ArgumentE
	.p2align	8
	.type	_ZN2ck27kernel_gemm_xdl_cshuffle_v3INS_28GridwiseGemm_xdl_cshuffle_v3INS_13tensor_layout4gemm8RowMajorENS3_11ColumnMajorES4_DF16_NS_7pk_i4_tEfDF16_DF16_NS_16tensor_operation12element_wise11PassThroughES9_S9_LNS7_6device18GemmSpecializationE0ELi256ELi1ELi128ELi128ELi128ELi64ELi8ELi16ELi16ELi16ELi8ELi1ENS_8SequenceIJLi8ELi32ELi1EEEENSC_IJLi1ELi0ELi2EEEESE_Li2ELi8ELi8ELb0ELi0ENSC_IJLi2ELi128ELi1EEEESE_SE_Li2ELi16ELi16ELb0ELi0ELi1ELi1ENSC_IJLi1ELi16ELi1ELi16EEEELi4ELNS_26BlockGemmPipelineSchedulerE0ELNS_24BlockGemmPipelineVersionE2EDF16_DF16_Lb0ELb1EEELb1ELNS_25InMemoryDataOperationEnumE0ELi2ELNS_10TailNumberE10EEEvNT_8ArgumentE,@function
_ZN2ck27kernel_gemm_xdl_cshuffle_v3INS_28GridwiseGemm_xdl_cshuffle_v3INS_13tensor_layout4gemm8RowMajorENS3_11ColumnMajorES4_DF16_NS_7pk_i4_tEfDF16_DF16_NS_16tensor_operation12element_wise11PassThroughES9_S9_LNS7_6device18GemmSpecializationE0ELi256ELi1ELi128ELi128ELi128ELi64ELi8ELi16ELi16ELi16ELi8ELi1ENS_8SequenceIJLi8ELi32ELi1EEEENSC_IJLi1ELi0ELi2EEEESE_Li2ELi8ELi8ELb0ELi0ENSC_IJLi2ELi128ELi1EEEESE_SE_Li2ELi16ELi16ELb0ELi0ELi1ELi1ENSC_IJLi1ELi16ELi1ELi16EEEELi4ELNS_26BlockGemmPipelineSchedulerE0ELNS_24BlockGemmPipelineVersionE2EDF16_DF16_Lb0ELb1EEELb1ELNS_25InMemoryDataOperationEnumE0ELi2ELNS_10TailNumberE10EEEvNT_8ArgumentE: ; @_ZN2ck27kernel_gemm_xdl_cshuffle_v3INS_28GridwiseGemm_xdl_cshuffle_v3INS_13tensor_layout4gemm8RowMajorENS3_11ColumnMajorES4_DF16_NS_7pk_i4_tEfDF16_DF16_NS_16tensor_operation12element_wise11PassThroughES9_S9_LNS7_6device18GemmSpecializationE0ELi256ELi1ELi128ELi128ELi128ELi64ELi8ELi16ELi16ELi16ELi8ELi1ENS_8SequenceIJLi8ELi32ELi1EEEENSC_IJLi1ELi0ELi2EEEESE_Li2ELi8ELi8ELb0ELi0ENSC_IJLi2ELi128ELi1EEEESE_SE_Li2ELi16ELi16ELb0ELi0ELi1ELi1ENSC_IJLi1ELi16ELi1ELi16EEEELi4ELNS_26BlockGemmPipelineSchedulerE0ELNS_24BlockGemmPipelineVersionE2EDF16_DF16_Lb0ELb1EEELb1ELNS_25InMemoryDataOperationEnumE0ELi2ELNS_10TailNumberE10EEEvNT_8ArgumentE
; %bb.0:
	s_endpgm
	.section	.rodata,"a",@progbits
	.p2align	6, 0x0
	.amdhsa_kernel _ZN2ck27kernel_gemm_xdl_cshuffle_v3INS_28GridwiseGemm_xdl_cshuffle_v3INS_13tensor_layout4gemm8RowMajorENS3_11ColumnMajorES4_DF16_NS_7pk_i4_tEfDF16_DF16_NS_16tensor_operation12element_wise11PassThroughES9_S9_LNS7_6device18GemmSpecializationE0ELi256ELi1ELi128ELi128ELi128ELi64ELi8ELi16ELi16ELi16ELi8ELi1ENS_8SequenceIJLi8ELi32ELi1EEEENSC_IJLi1ELi0ELi2EEEESE_Li2ELi8ELi8ELb0ELi0ENSC_IJLi2ELi128ELi1EEEESE_SE_Li2ELi16ELi16ELb0ELi0ELi1ELi1ENSC_IJLi1ELi16ELi1ELi16EEEELi4ELNS_26BlockGemmPipelineSchedulerE0ELNS_24BlockGemmPipelineVersionE2EDF16_DF16_Lb0ELb1EEELb1ELNS_25InMemoryDataOperationEnumE0ELi2ELNS_10TailNumberE10EEEvNT_8ArgumentE
		.amdhsa_group_segment_fixed_size 0
		.amdhsa_private_segment_fixed_size 0
		.amdhsa_kernarg_size 120
		.amdhsa_user_sgpr_count 6
		.amdhsa_user_sgpr_private_segment_buffer 1
		.amdhsa_user_sgpr_dispatch_ptr 0
		.amdhsa_user_sgpr_queue_ptr 0
		.amdhsa_user_sgpr_kernarg_segment_ptr 1
		.amdhsa_user_sgpr_dispatch_id 0
		.amdhsa_user_sgpr_flat_scratch_init 0
		.amdhsa_user_sgpr_kernarg_preload_length 0
		.amdhsa_user_sgpr_kernarg_preload_offset 0
		.amdhsa_user_sgpr_private_segment_size 0
		.amdhsa_uses_dynamic_stack 0
		.amdhsa_system_sgpr_private_segment_wavefront_offset 0
		.amdhsa_system_sgpr_workgroup_id_x 1
		.amdhsa_system_sgpr_workgroup_id_y 0
		.amdhsa_system_sgpr_workgroup_id_z 0
		.amdhsa_system_sgpr_workgroup_info 0
		.amdhsa_system_vgpr_workitem_id 0
		.amdhsa_next_free_vgpr 1
		.amdhsa_next_free_sgpr 0
		.amdhsa_accum_offset 4
		.amdhsa_reserve_vcc 0
		.amdhsa_reserve_flat_scratch 0
		.amdhsa_float_round_mode_32 0
		.amdhsa_float_round_mode_16_64 0
		.amdhsa_float_denorm_mode_32 3
		.amdhsa_float_denorm_mode_16_64 3
		.amdhsa_dx10_clamp 1
		.amdhsa_ieee_mode 1
		.amdhsa_fp16_overflow 0
		.amdhsa_tg_split 0
		.amdhsa_exception_fp_ieee_invalid_op 0
		.amdhsa_exception_fp_denorm_src 0
		.amdhsa_exception_fp_ieee_div_zero 0
		.amdhsa_exception_fp_ieee_overflow 0
		.amdhsa_exception_fp_ieee_underflow 0
		.amdhsa_exception_fp_ieee_inexact 0
		.amdhsa_exception_int_div_zero 0
	.end_amdhsa_kernel
	.section	.text._ZN2ck27kernel_gemm_xdl_cshuffle_v3INS_28GridwiseGemm_xdl_cshuffle_v3INS_13tensor_layout4gemm8RowMajorENS3_11ColumnMajorES4_DF16_NS_7pk_i4_tEfDF16_DF16_NS_16tensor_operation12element_wise11PassThroughES9_S9_LNS7_6device18GemmSpecializationE0ELi256ELi1ELi128ELi128ELi128ELi64ELi8ELi16ELi16ELi16ELi8ELi1ENS_8SequenceIJLi8ELi32ELi1EEEENSC_IJLi1ELi0ELi2EEEESE_Li2ELi8ELi8ELb0ELi0ENSC_IJLi2ELi128ELi1EEEESE_SE_Li2ELi16ELi16ELb0ELi0ELi1ELi1ENSC_IJLi1ELi16ELi1ELi16EEEELi4ELNS_26BlockGemmPipelineSchedulerE0ELNS_24BlockGemmPipelineVersionE2EDF16_DF16_Lb0ELb1EEELb1ELNS_25InMemoryDataOperationEnumE0ELi2ELNS_10TailNumberE10EEEvNT_8ArgumentE,"axG",@progbits,_ZN2ck27kernel_gemm_xdl_cshuffle_v3INS_28GridwiseGemm_xdl_cshuffle_v3INS_13tensor_layout4gemm8RowMajorENS3_11ColumnMajorES4_DF16_NS_7pk_i4_tEfDF16_DF16_NS_16tensor_operation12element_wise11PassThroughES9_S9_LNS7_6device18GemmSpecializationE0ELi256ELi1ELi128ELi128ELi128ELi64ELi8ELi16ELi16ELi16ELi8ELi1ENS_8SequenceIJLi8ELi32ELi1EEEENSC_IJLi1ELi0ELi2EEEESE_Li2ELi8ELi8ELb0ELi0ENSC_IJLi2ELi128ELi1EEEESE_SE_Li2ELi16ELi16ELb0ELi0ELi1ELi1ENSC_IJLi1ELi16ELi1ELi16EEEELi4ELNS_26BlockGemmPipelineSchedulerE0ELNS_24BlockGemmPipelineVersionE2EDF16_DF16_Lb0ELb1EEELb1ELNS_25InMemoryDataOperationEnumE0ELi2ELNS_10TailNumberE10EEEvNT_8ArgumentE,comdat
.Lfunc_end4:
	.size	_ZN2ck27kernel_gemm_xdl_cshuffle_v3INS_28GridwiseGemm_xdl_cshuffle_v3INS_13tensor_layout4gemm8RowMajorENS3_11ColumnMajorES4_DF16_NS_7pk_i4_tEfDF16_DF16_NS_16tensor_operation12element_wise11PassThroughES9_S9_LNS7_6device18GemmSpecializationE0ELi256ELi1ELi128ELi128ELi128ELi64ELi8ELi16ELi16ELi16ELi8ELi1ENS_8SequenceIJLi8ELi32ELi1EEEENSC_IJLi1ELi0ELi2EEEESE_Li2ELi8ELi8ELb0ELi0ENSC_IJLi2ELi128ELi1EEEESE_SE_Li2ELi16ELi16ELb0ELi0ELi1ELi1ENSC_IJLi1ELi16ELi1ELi16EEEELi4ELNS_26BlockGemmPipelineSchedulerE0ELNS_24BlockGemmPipelineVersionE2EDF16_DF16_Lb0ELb1EEELb1ELNS_25InMemoryDataOperationEnumE0ELi2ELNS_10TailNumberE10EEEvNT_8ArgumentE, .Lfunc_end4-_ZN2ck27kernel_gemm_xdl_cshuffle_v3INS_28GridwiseGemm_xdl_cshuffle_v3INS_13tensor_layout4gemm8RowMajorENS3_11ColumnMajorES4_DF16_NS_7pk_i4_tEfDF16_DF16_NS_16tensor_operation12element_wise11PassThroughES9_S9_LNS7_6device18GemmSpecializationE0ELi256ELi1ELi128ELi128ELi128ELi64ELi8ELi16ELi16ELi16ELi8ELi1ENS_8SequenceIJLi8ELi32ELi1EEEENSC_IJLi1ELi0ELi2EEEESE_Li2ELi8ELi8ELb0ELi0ENSC_IJLi2ELi128ELi1EEEESE_SE_Li2ELi16ELi16ELb0ELi0ELi1ELi1ENSC_IJLi1ELi16ELi1ELi16EEEELi4ELNS_26BlockGemmPipelineSchedulerE0ELNS_24BlockGemmPipelineVersionE2EDF16_DF16_Lb0ELb1EEELb1ELNS_25InMemoryDataOperationEnumE0ELi2ELNS_10TailNumberE10EEEvNT_8ArgumentE
                                        ; -- End function
	.section	.AMDGPU.csdata,"",@progbits
; Kernel info:
; codeLenInByte = 4
; NumSgprs: 4
; NumVgprs: 0
; NumAgprs: 0
; TotalNumVgprs: 0
; ScratchSize: 0
; MemoryBound: 0
; FloatMode: 240
; IeeeMode: 1
; LDSByteSize: 0 bytes/workgroup (compile time only)
; SGPRBlocks: 0
; VGPRBlocks: 0
; NumSGPRsForWavesPerEU: 4
; NumVGPRsForWavesPerEU: 1
; AccumOffset: 4
; Occupancy: 8
; WaveLimiterHint : 0
; COMPUTE_PGM_RSRC2:SCRATCH_EN: 0
; COMPUTE_PGM_RSRC2:USER_SGPR: 6
; COMPUTE_PGM_RSRC2:TRAP_HANDLER: 0
; COMPUTE_PGM_RSRC2:TGID_X_EN: 1
; COMPUTE_PGM_RSRC2:TGID_Y_EN: 0
; COMPUTE_PGM_RSRC2:TGID_Z_EN: 0
; COMPUTE_PGM_RSRC2:TIDIG_COMP_CNT: 0
; COMPUTE_PGM_RSRC3_GFX90A:ACCUM_OFFSET: 0
; COMPUTE_PGM_RSRC3_GFX90A:TG_SPLIT: 0
	.text
	.p2alignl 6, 3212836864
	.fill 256, 4, 3212836864
	.type	__hip_cuid_d1e258f9497b78d6,@object ; @__hip_cuid_d1e258f9497b78d6
	.section	.bss,"aw",@nobits
	.globl	__hip_cuid_d1e258f9497b78d6
__hip_cuid_d1e258f9497b78d6:
	.byte	0                               ; 0x0
	.size	__hip_cuid_d1e258f9497b78d6, 1

	.ident	"AMD clang version 19.0.0git (https://github.com/RadeonOpenCompute/llvm-project roc-6.4.0 25133 c7fe45cf4b819c5991fe208aaa96edf142730f1d)"
	.section	".note.GNU-stack","",@progbits
	.addrsig
	.addrsig_sym __hip_cuid_d1e258f9497b78d6
	.amdgpu_metadata
---
amdhsa.kernels:
  - .agpr_count:     0
    .args:           []
    .group_segment_fixed_size: 0
    .kernarg_segment_align: 4
    .kernarg_segment_size: 0
    .language:       OpenCL C
    .language_version:
      - 2
      - 0
    .max_flat_workgroup_size: 1024
    .name:           _ZN2ckL12flush_icacheEv
    .private_segment_fixed_size: 0
    .sgpr_count:     4
    .sgpr_spill_count: 0
    .symbol:         _ZN2ckL12flush_icacheEv.kd
    .uniform_work_group_size: 1
    .uses_dynamic_stack: false
    .vgpr_count:     0
    .vgpr_spill_count: 0
    .wavefront_size: 64
  - .agpr_count:     0
    .args:
      - .offset:         0
        .size:           120
        .value_kind:     by_value
    .group_segment_fixed_size: 20480
    .kernarg_segment_align: 8
    .kernarg_segment_size: 120
    .language:       OpenCL C
    .language_version:
      - 2
      - 0
    .max_flat_workgroup_size: 256
    .name:           _ZN2ck27kernel_gemm_xdl_cshuffle_v3INS_28GridwiseGemm_xdl_cshuffle_v3INS_13tensor_layout4gemm8RowMajorENS3_11ColumnMajorES4_DF16_NS_7pk_i4_tEfDF16_DF16_NS_16tensor_operation12element_wise11PassThroughES9_S9_LNS7_6device18GemmSpecializationE0ELi256ELi1ELi128ELi128ELi128ELi64ELi8ELi16ELi16ELi16ELi8ELi2ENS_8SequenceIJLi8ELi32ELi1EEEENSC_IJLi1ELi0ELi2EEEESE_Li2ELi8ELi8ELb0ELi0ENSC_IJLi2ELi128ELi1EEEESE_SE_Li2ELi16ELi16ELb0ELi0ELi1ELi1ENSC_IJLi1ELi16ELi1ELi16EEEELi4ELNS_26BlockGemmPipelineSchedulerE0ELNS_24BlockGemmPipelineVersionE2EDF16_DF16_Lb0ELb1EEELb1ELNS_25InMemoryDataOperationEnumE1ELi2ELNS_10TailNumberE10EEEvNT_8ArgumentE
    .private_segment_fixed_size: 0
    .sgpr_count:     40
    .sgpr_spill_count: 0
    .symbol:         _ZN2ck27kernel_gemm_xdl_cshuffle_v3INS_28GridwiseGemm_xdl_cshuffle_v3INS_13tensor_layout4gemm8RowMajorENS3_11ColumnMajorES4_DF16_NS_7pk_i4_tEfDF16_DF16_NS_16tensor_operation12element_wise11PassThroughES9_S9_LNS7_6device18GemmSpecializationE0ELi256ELi1ELi128ELi128ELi128ELi64ELi8ELi16ELi16ELi16ELi8ELi2ENS_8SequenceIJLi8ELi32ELi1EEEENSC_IJLi1ELi0ELi2EEEESE_Li2ELi8ELi8ELb0ELi0ENSC_IJLi2ELi128ELi1EEEESE_SE_Li2ELi16ELi16ELb0ELi0ELi1ELi1ENSC_IJLi1ELi16ELi1ELi16EEEELi4ELNS_26BlockGemmPipelineSchedulerE0ELNS_24BlockGemmPipelineVersionE2EDF16_DF16_Lb0ELb1EEELb1ELNS_25InMemoryDataOperationEnumE1ELi2ELNS_10TailNumberE10EEEvNT_8ArgumentE.kd
    .uniform_work_group_size: 1
    .uses_dynamic_stack: false
    .vgpr_count:     206
    .vgpr_spill_count: 0
    .wavefront_size: 64
  - .agpr_count:     0
    .args:
      - .offset:         0
        .size:           120
        .value_kind:     by_value
    .group_segment_fixed_size: 20480
    .kernarg_segment_align: 8
    .kernarg_segment_size: 120
    .language:       OpenCL C
    .language_version:
      - 2
      - 0
    .max_flat_workgroup_size: 256
    .name:           _ZN2ck27kernel_gemm_xdl_cshuffle_v3INS_28GridwiseGemm_xdl_cshuffle_v3INS_13tensor_layout4gemm8RowMajorENS3_11ColumnMajorES4_DF16_NS_7pk_i4_tEfDF16_DF16_NS_16tensor_operation12element_wise11PassThroughES9_S9_LNS7_6device18GemmSpecializationE0ELi256ELi1ELi128ELi128ELi128ELi64ELi8ELi16ELi16ELi16ELi8ELi2ENS_8SequenceIJLi8ELi32ELi1EEEENSC_IJLi1ELi0ELi2EEEESE_Li2ELi8ELi8ELb0ELi0ENSC_IJLi2ELi128ELi1EEEESE_SE_Li2ELi16ELi16ELb0ELi0ELi1ELi1ENSC_IJLi1ELi16ELi1ELi16EEEELi4ELNS_26BlockGemmPipelineSchedulerE0ELNS_24BlockGemmPipelineVersionE2EDF16_DF16_Lb0ELb1EEELb1ELNS_25InMemoryDataOperationEnumE0ELi2ELNS_10TailNumberE10EEEvNT_8ArgumentE
    .private_segment_fixed_size: 0
    .sgpr_count:     40
    .sgpr_spill_count: 0
    .symbol:         _ZN2ck27kernel_gemm_xdl_cshuffle_v3INS_28GridwiseGemm_xdl_cshuffle_v3INS_13tensor_layout4gemm8RowMajorENS3_11ColumnMajorES4_DF16_NS_7pk_i4_tEfDF16_DF16_NS_16tensor_operation12element_wise11PassThroughES9_S9_LNS7_6device18GemmSpecializationE0ELi256ELi1ELi128ELi128ELi128ELi64ELi8ELi16ELi16ELi16ELi8ELi2ENS_8SequenceIJLi8ELi32ELi1EEEENSC_IJLi1ELi0ELi2EEEESE_Li2ELi8ELi8ELb0ELi0ENSC_IJLi2ELi128ELi1EEEESE_SE_Li2ELi16ELi16ELb0ELi0ELi1ELi1ENSC_IJLi1ELi16ELi1ELi16EEEELi4ELNS_26BlockGemmPipelineSchedulerE0ELNS_24BlockGemmPipelineVersionE2EDF16_DF16_Lb0ELb1EEELb1ELNS_25InMemoryDataOperationEnumE0ELi2ELNS_10TailNumberE10EEEvNT_8ArgumentE.kd
    .uniform_work_group_size: 1
    .uses_dynamic_stack: false
    .vgpr_count:     206
    .vgpr_spill_count: 0
    .wavefront_size: 64
  - .agpr_count:     0
    .args:
      - .offset:         0
        .size:           120
        .value_kind:     by_value
    .group_segment_fixed_size: 0
    .kernarg_segment_align: 8
    .kernarg_segment_size: 120
    .language:       OpenCL C
    .language_version:
      - 2
      - 0
    .max_flat_workgroup_size: 256
    .name:           _ZN2ck27kernel_gemm_xdl_cshuffle_v3INS_28GridwiseGemm_xdl_cshuffle_v3INS_13tensor_layout4gemm8RowMajorENS3_11ColumnMajorES4_DF16_NS_7pk_i4_tEfDF16_DF16_NS_16tensor_operation12element_wise11PassThroughES9_S9_LNS7_6device18GemmSpecializationE0ELi256ELi1ELi128ELi128ELi128ELi64ELi8ELi16ELi16ELi16ELi8ELi1ENS_8SequenceIJLi8ELi32ELi1EEEENSC_IJLi1ELi0ELi2EEEESE_Li2ELi8ELi8ELb0ELi0ENSC_IJLi2ELi128ELi1EEEESE_SE_Li2ELi16ELi16ELb0ELi0ELi1ELi1ENSC_IJLi1ELi16ELi1ELi16EEEELi4ELNS_26BlockGemmPipelineSchedulerE0ELNS_24BlockGemmPipelineVersionE2EDF16_DF16_Lb0ELb1EEELb1ELNS_25InMemoryDataOperationEnumE1ELi2ELNS_10TailNumberE10EEEvNT_8ArgumentE
    .private_segment_fixed_size: 0
    .sgpr_count:     4
    .sgpr_spill_count: 0
    .symbol:         _ZN2ck27kernel_gemm_xdl_cshuffle_v3INS_28GridwiseGemm_xdl_cshuffle_v3INS_13tensor_layout4gemm8RowMajorENS3_11ColumnMajorES4_DF16_NS_7pk_i4_tEfDF16_DF16_NS_16tensor_operation12element_wise11PassThroughES9_S9_LNS7_6device18GemmSpecializationE0ELi256ELi1ELi128ELi128ELi128ELi64ELi8ELi16ELi16ELi16ELi8ELi1ENS_8SequenceIJLi8ELi32ELi1EEEENSC_IJLi1ELi0ELi2EEEESE_Li2ELi8ELi8ELb0ELi0ENSC_IJLi2ELi128ELi1EEEESE_SE_Li2ELi16ELi16ELb0ELi0ELi1ELi1ENSC_IJLi1ELi16ELi1ELi16EEEELi4ELNS_26BlockGemmPipelineSchedulerE0ELNS_24BlockGemmPipelineVersionE2EDF16_DF16_Lb0ELb1EEELb1ELNS_25InMemoryDataOperationEnumE1ELi2ELNS_10TailNumberE10EEEvNT_8ArgumentE.kd
    .uniform_work_group_size: 1
    .uses_dynamic_stack: false
    .vgpr_count:     0
    .vgpr_spill_count: 0
    .wavefront_size: 64
  - .agpr_count:     0
    .args:
      - .offset:         0
        .size:           120
        .value_kind:     by_value
    .group_segment_fixed_size: 0
    .kernarg_segment_align: 8
    .kernarg_segment_size: 120
    .language:       OpenCL C
    .language_version:
      - 2
      - 0
    .max_flat_workgroup_size: 256
    .name:           _ZN2ck27kernel_gemm_xdl_cshuffle_v3INS_28GridwiseGemm_xdl_cshuffle_v3INS_13tensor_layout4gemm8RowMajorENS3_11ColumnMajorES4_DF16_NS_7pk_i4_tEfDF16_DF16_NS_16tensor_operation12element_wise11PassThroughES9_S9_LNS7_6device18GemmSpecializationE0ELi256ELi1ELi128ELi128ELi128ELi64ELi8ELi16ELi16ELi16ELi8ELi1ENS_8SequenceIJLi8ELi32ELi1EEEENSC_IJLi1ELi0ELi2EEEESE_Li2ELi8ELi8ELb0ELi0ENSC_IJLi2ELi128ELi1EEEESE_SE_Li2ELi16ELi16ELb0ELi0ELi1ELi1ENSC_IJLi1ELi16ELi1ELi16EEEELi4ELNS_26BlockGemmPipelineSchedulerE0ELNS_24BlockGemmPipelineVersionE2EDF16_DF16_Lb0ELb1EEELb1ELNS_25InMemoryDataOperationEnumE0ELi2ELNS_10TailNumberE10EEEvNT_8ArgumentE
    .private_segment_fixed_size: 0
    .sgpr_count:     4
    .sgpr_spill_count: 0
    .symbol:         _ZN2ck27kernel_gemm_xdl_cshuffle_v3INS_28GridwiseGemm_xdl_cshuffle_v3INS_13tensor_layout4gemm8RowMajorENS3_11ColumnMajorES4_DF16_NS_7pk_i4_tEfDF16_DF16_NS_16tensor_operation12element_wise11PassThroughES9_S9_LNS7_6device18GemmSpecializationE0ELi256ELi1ELi128ELi128ELi128ELi64ELi8ELi16ELi16ELi16ELi8ELi1ENS_8SequenceIJLi8ELi32ELi1EEEENSC_IJLi1ELi0ELi2EEEESE_Li2ELi8ELi8ELb0ELi0ENSC_IJLi2ELi128ELi1EEEESE_SE_Li2ELi16ELi16ELb0ELi0ELi1ELi1ENSC_IJLi1ELi16ELi1ELi16EEEELi4ELNS_26BlockGemmPipelineSchedulerE0ELNS_24BlockGemmPipelineVersionE2EDF16_DF16_Lb0ELb1EEELb1ELNS_25InMemoryDataOperationEnumE0ELi2ELNS_10TailNumberE10EEEvNT_8ArgumentE.kd
    .uniform_work_group_size: 1
    .uses_dynamic_stack: false
    .vgpr_count:     0
    .vgpr_spill_count: 0
    .wavefront_size: 64
amdhsa.target:   amdgcn-amd-amdhsa--gfx90a
amdhsa.version:
  - 1
  - 2
...

	.end_amdgpu_metadata
